;; amdgpu-corpus repo=zjin-lcf/HeCBench kind=compiled arch=gfx906 opt=O3
	.amdgcn_target "amdgcn-amd-amdhsa--gfx906"
	.amdhsa_code_object_version 6
	.text
	.protected	_Z19selective_scan_basePKfS0_S0_S0_S0_S0_S0_S0_biiiiPfS1_ ; -- Begin function _Z19selective_scan_basePKfS0_S0_S0_S0_S0_S0_S0_biiiiPfS1_
	.globl	_Z19selective_scan_basePKfS0_S0_S0_S0_S0_S0_S0_biiiiPfS1_
	.p2align	8
	.type	_Z19selective_scan_basePKfS0_S0_S0_S0_S0_S0_S0_biiiiPfS1_,@function
_Z19selective_scan_basePKfS0_S0_S0_S0_S0_S0_S0_biiiiPfS1_: ; @_Z19selective_scan_basePKfS0_S0_S0_S0_S0_S0_S0_biiiiPfS1_
; %bb.0:
	s_load_dword s0, s[4:5], 0x74
	s_load_dwordx4 s[16:19], s[4:5], 0x40
	s_waitcnt lgkmcnt(0)
	s_and_b32 s0, s0, 0xffff
	s_mul_i32 s7, s7, s0
	v_add_u32_e32 v0, s7, v0
	s_cmp_lt_i32 s6, s17
	s_cselect_b64 s[0:1], -1, 0
	v_cmp_gt_i32_e32 vcc, s18, v0
	s_and_b64 s[0:1], s[0:1], vcc
	s_and_saveexec_b64 s[2:3], s[0:1]
	s_cbranch_execz .LBB0_16
; %bb.1:
	s_load_dwordx8 s[20:27], s[4:5], 0x20
	v_ashrrev_i32_e32 v1, 31, v0
	v_lshlrev_b64 v[1:2], 2, v[0:1]
	s_cmp_gt_i32 s19, 0
	s_mul_i32 s0, s18, s6
	s_waitcnt lgkmcnt(0)
	v_mov_b32_e32 v4, s25
	v_add_co_u32_e32 v3, vcc, s24, v1
	v_addc_co_u32_e32 v4, vcc, v4, v2, vcc
	global_load_dword v14, v[3:4], off
	v_mov_b32_e32 v3, s23
	v_add_co_u32_e32 v1, vcc, s22, v1
	v_addc_co_u32_e32 v2, vcc, v3, v2, vcc
	global_load_dword v16, v[1:2], off
	s_load_dwordx8 s[36:43], s[4:5], 0x0
	s_load_dwordx4 s[28:31], s[4:5], 0x58
	s_load_dword s33, s[4:5], 0x50
	s_cselect_b64 s[22:23], -1, 0
	s_cmp_lt_i32 s19, 1
	v_add_u32_e32 v15, s0, v0
	s_cbranch_scc1 .LBB0_5
; %bb.2:
	v_mul_lo_u32 v1, v15, s19
	s_waitcnt lgkmcnt(0)
	v_mov_b32_e32 v3, s29
	v_mov_b32_e32 v6, 0
	s_mov_b64 s[24:25], 0
	v_ashrrev_i32_e32 v2, 31, v1
	v_lshlrev_b64 v[1:2], 2, v[1:2]
	v_mov_b32_e32 v7, 0
	v_add_co_u32_e32 v1, vcc, s28, v1
	v_addc_co_u32_e32 v2, vcc, v3, v2, vcc
	v_mov_b32_e32 v8, 0
	v_mov_b32_e32 v9, 0
	;; [unrolled: 1-line block ×6, first 2 shown]
.LBB0_3:                                ; =>This Inner Loop Header: Depth=1
	global_load_dword v3, v[1:2], off
	v_add_co_u32_e32 v1, vcc, 4, v1
	s_cmp_eq_u32 s24, 7
	v_addc_co_u32_e32 v2, vcc, 0, v2, vcc
	s_cselect_b64 vcc, -1, 0
	s_cmp_eq_u32 s24, 6
	s_cselect_b64 s[0:1], -1, 0
	s_cmp_eq_u32 s24, 5
	s_cselect_b64 s[2:3], -1, 0
	;; [unrolled: 2-line block ×7, first 2 shown]
	s_add_u32 s24, s24, 1
	s_addc_u32 s25, s25, 0
	s_cmp_eq_u32 s19, s24
	s_waitcnt vmcnt(0)
	v_cndmask_b32_e32 v13, v13, v3, vcc
	v_cndmask_b32_e64 v12, v12, v3, s[0:1]
	v_cndmask_b32_e64 v11, v11, v3, s[2:3]
	;; [unrolled: 1-line block ×7, first 2 shown]
	s_cbranch_scc0 .LBB0_3
; %bb.4:
	v_cndmask_b32_e64 v1, 0, 1, s[22:23]
	s_cmp_lt_i32 s33, 1
	v_cmp_ne_u32_e64 s[0:1], 1, v1
	s_cbranch_scc0 .LBB0_6
	s_branch .LBB0_13
.LBB0_5:
	v_mov_b32_e32 v6, 0
	v_mov_b32_e32 v7, v6
	;; [unrolled: 1-line block ×8, first 2 shown]
	v_cndmask_b32_e64 v1, 0, 1, s[22:23]
	s_waitcnt lgkmcnt(0)
	s_cmp_lt_i32 s33, 1
	v_cmp_ne_u32_e64 s[0:1], 1, v1
	s_cbranch_scc1 .LBB0_13
.LBB0_6:
	v_mul_lo_u32 v0, v0, s19
	v_mul_lo_u32 v17, v15, s33
	s_bitcmp1_b32 s16, 0
	s_cselect_b64 s[2:3], -1, 0
	v_ashrrev_i32_e32 v1, 31, v0
	v_lshlrev_b64 v[0:1], 2, v[0:1]
	s_cmp_lg_u64 s[26:27], 0
	v_mov_b32_e32 v2, s41
	v_add_co_u32_e32 v0, vcc, s40, v0
	s_mul_i32 s4, s6, s33
	s_cselect_b64 s[22:23], -1, 0
	v_addc_co_u32_e32 v1, vcc, v2, v1, vcc
	s_mul_i32 s18, s4, s19
	s_mov_b32 s40, 0
	v_mov_b32_e32 v18, s37
	s_mov_b32 s37, 0x41a00000
	s_mov_b32 s41, 0x800000
	;; [unrolled: 1-line block ×4, first 2 shown]
	v_mov_b32_e32 v19, 0x41b17218
	s_branch .LBB0_8
.LBB0_7:                                ;   in Loop: Header=BB0_8 Depth=1
	v_mov_b32_e32 v4, s31
	v_add_co_u32_e32 v2, vcc, s30, v2
	s_add_i32 s40, s40, 1
	s_add_i32 s18, s18, 1
	v_addc_co_u32_e32 v3, vcc, v4, v3, vcc
	s_cmp_eq_u32 s40, s33
	global_store_dword v[2:3], v20, off
	s_cbranch_scc1 .LBB0_13
.LBB0_8:                                ; =>This Loop Header: Depth=1
                                        ;     Child Loop BB0_10 Depth 2
	v_add_u32_e32 v2, s40, v17
	v_ashrrev_i32_e32 v3, 31, v2
	v_lshlrev_b64 v[2:3], 2, v[2:3]
	v_add_co_u32_e32 v4, vcc, s36, v2
	v_addc_co_u32_e32 v5, vcc, v18, v3, vcc
	global_load_dword v21, v[4:5], off
	s_and_b64 vcc, exec, s[0:1]
	s_waitcnt vmcnt(0)
	v_mul_f32_e32 v20, v16, v21
	s_cbranch_vccnz .LBB0_11
; %bb.9:                                ;   in Loop: Header=BB0_8 Depth=1
	v_add_co_u32_e32 v4, vcc, s38, v2
	v_mov_b32_e32 v5, s39
	v_addc_co_u32_e32 v5, vcc, v5, v3, vcc
	global_load_dword v4, v[4:5], off
	s_mov_b64 s[24:25], 0
	s_mov_b32 s34, s18
	s_waitcnt vmcnt(0)
	v_add_f32_e32 v4, v14, v4
	v_mul_f32_e32 v5, 0x3fb8aa3b, v4
	v_exp_f32_e32 v5, v5
	v_cmp_lt_f32_e32 vcc, s37, v4
	v_add_f32_e32 v5, 1.0, v5
	v_cmp_gt_f32_e64 s[4:5], s41, v5
	v_cndmask_b32_e64 v22, 0, 32, s[4:5]
	v_ldexp_f32 v5, v5, v22
	v_log_f32_e32 v5, v5
	v_mul_f32_e32 v22, 0x3f317217, v5
	v_fma_f32 v22, v5, s44, -v22
	v_fmac_f32_e32 v22, 0x3377d1cf, v5
	v_fmac_f32_e32 v22, 0x3f317217, v5
	v_cmp_lt_f32_e64 s[6:7], |v5|, s45
	v_cndmask_b32_e64 v5, v5, v22, s[6:7]
	v_cndmask_b32_e64 v22, 0, v19, s[4:5]
	v_sub_f32_e32 v5, v5, v22
	v_cndmask_b32_e32 v5, v5, v4, vcc
	v_cndmask_b32_e64 v22, v4, v5, s[2:3]
	v_mov_b32_e32 v5, v1
	v_mov_b32_e32 v4, v0
.LBB0_10:                               ;   Parent Loop BB0_8 Depth=1
                                        ; =>  This Inner Loop Header: Depth=2
	global_load_dword v23, v[4:5], off
	s_ashr_i32 s35, s34, 31
	s_lshl_b64 s[46:47], s[34:35], 2
	s_add_u32 s4, s42, s46
	v_add_co_u32_e32 v4, vcc, 4, v4
	s_addc_u32 s5, s43, s47
	v_addc_co_u32_e32 v5, vcc, 0, v5, vcc
	s_load_dword s10, s[4:5], 0x0
	s_cmp_eq_u32 s24, 1
	s_cselect_b64 vcc, -1, 0
	s_cmp_eq_u32 s24, 2
	v_cndmask_b32_e32 v24, v6, v7, vcc
	s_cselect_b64 s[4:5], -1, 0
	s_cmp_eq_u32 s24, 3
	v_cndmask_b32_e64 v24, v24, v8, s[4:5]
	s_cselect_b64 s[6:7], -1, 0
	s_cmp_eq_u32 s24, 4
	v_cndmask_b32_e64 v24, v24, v9, s[6:7]
	s_cselect_b64 s[8:9], -1, 0
	s_cmp_eq_u32 s24, 5
	v_cndmask_b32_e64 v24, v24, v10, s[8:9]
	s_waitcnt lgkmcnt(0)
	v_mul_f32_e32 v25, s10, v22
	s_cselect_b64 s[10:11], -1, 0
	s_cmp_eq_u32 s24, 6
	v_cndmask_b32_e64 v24, v24, v11, s[10:11]
	s_cselect_b64 s[12:13], -1, 0
	s_cmp_eq_u32 s24, 7
	v_cndmask_b32_e64 v24, v24, v12, s[12:13]
	s_cselect_b64 s[14:15], -1, 0
	v_cndmask_b32_e64 v24, v24, v13, s[14:15]
	s_cmp_eq_u32 s24, 0
	s_cselect_b64 s[16:17], -1, 0
	s_add_u32 s46, s20, s46
	s_addc_u32 s47, s21, s47
	s_add_u32 s24, s24, 1
	s_addc_u32 s25, s25, 0
	s_add_i32 s34, s34, s33
	s_cmp_eq_u32 s19, s24
	s_waitcnt vmcnt(0)
	v_mul_f32_e32 v23, v22, v23
	v_mul_f32_e32 v23, 0x3fb8aa3b, v23
	v_exp_f32_e32 v23, v23
	v_mul_f32_e32 v23, v24, v23
	v_fmac_f32_e32 v23, v21, v25
	v_cndmask_b32_e64 v8, v8, v23, s[4:5]
	s_load_dword s4, s[46:47], 0x0
	v_cndmask_b32_e64 v13, v13, v23, s[14:15]
	v_cndmask_b32_e64 v12, v12, v23, s[12:13]
	;; [unrolled: 1-line block ×5, first 2 shown]
	v_cndmask_b32_e32 v7, v7, v23, vcc
	v_cndmask_b32_e64 v6, v6, v23, s[16:17]
	s_waitcnt lgkmcnt(0)
	v_fmac_f32_e32 v20, s4, v23
	s_cbranch_scc0 .LBB0_10
.LBB0_11:                               ;   in Loop: Header=BB0_8 Depth=1
	s_and_b64 vcc, exec, s[22:23]
	s_cbranch_vccz .LBB0_7
; %bb.12:                               ;   in Loop: Header=BB0_8 Depth=1
	v_mov_b32_e32 v5, s27
	v_add_co_u32_e32 v4, vcc, s26, v2
	v_addc_co_u32_e32 v5, vcc, v5, v3, vcc
	global_load_dword v4, v[4:5], off
	s_waitcnt vmcnt(0)
	v_mul_f32_e32 v5, 0xbfb8aa3b, v4
	v_exp_f32_e32 v5, v5
	v_add_f32_e32 v5, 1.0, v5
	v_div_scale_f32 v21, s[4:5], v5, v5, v4
	v_div_scale_f32 v22, vcc, v4, v5, v4
	v_rcp_f32_e32 v23, v21
	v_fma_f32 v24, -v21, v23, 1.0
	v_fmac_f32_e32 v23, v24, v23
	v_mul_f32_e32 v24, v22, v23
	v_fma_f32 v25, -v21, v24, v22
	v_fmac_f32_e32 v24, v25, v23
	v_fma_f32 v21, -v21, v24, v22
	v_div_fmas_f32 v21, v21, v23, v24
	v_div_fixup_f32 v4, v21, v5, v4
	v_mul_f32_e32 v20, v20, v4
	s_branch .LBB0_7
.LBB0_13:
	s_and_b64 vcc, exec, s[0:1]
	s_cbranch_vccnz .LBB0_16
; %bb.14:
	v_mul_lo_u32 v0, v15, s19
	v_mov_b32_e32 v2, s29
	s_mov_b64 s[0:1], 0
	v_ashrrev_i32_e32 v1, 31, v0
	v_lshlrev_b64 v[0:1], 2, v[0:1]
	v_add_co_u32_e32 v0, vcc, s28, v0
	v_addc_co_u32_e32 v1, vcc, v2, v1, vcc
.LBB0_15:                               ; =>This Inner Loop Header: Depth=1
	s_cmp_eq_u32 s0, 1
	s_cselect_b64 vcc, -1, 0
	s_cmp_eq_u32 s0, 2
	v_cndmask_b32_e32 v2, v6, v7, vcc
	s_cselect_b64 vcc, -1, 0
	s_cmp_eq_u32 s0, 3
	v_cndmask_b32_e32 v2, v2, v8, vcc
	;; [unrolled: 3-line block ×6, first 2 shown]
	s_cselect_b64 vcc, -1, 0
	v_cndmask_b32_e32 v2, v2, v13, vcc
	s_add_u32 s0, s0, 1
	global_store_dword v[0:1], v2, off
	s_addc_u32 s1, s1, 0
	v_add_co_u32_e32 v0, vcc, 4, v0
	s_cmp_lg_u32 s19, s0
	v_addc_co_u32_e32 v1, vcc, 0, v1, vcc
	s_cbranch_scc1 .LBB0_15
.LBB0_16:
	s_endpgm
	.section	.rodata,"a",@progbits
	.p2align	6, 0x0
	.amdhsa_kernel _Z19selective_scan_basePKfS0_S0_S0_S0_S0_S0_S0_biiiiPfS1_
		.amdhsa_group_segment_fixed_size 0
		.amdhsa_private_segment_fixed_size 0
		.amdhsa_kernarg_size 360
		.amdhsa_user_sgpr_count 6
		.amdhsa_user_sgpr_private_segment_buffer 1
		.amdhsa_user_sgpr_dispatch_ptr 0
		.amdhsa_user_sgpr_queue_ptr 0
		.amdhsa_user_sgpr_kernarg_segment_ptr 1
		.amdhsa_user_sgpr_dispatch_id 0
		.amdhsa_user_sgpr_flat_scratch_init 0
		.amdhsa_user_sgpr_private_segment_size 0
		.amdhsa_uses_dynamic_stack 0
		.amdhsa_system_sgpr_private_segment_wavefront_offset 0
		.amdhsa_system_sgpr_workgroup_id_x 1
		.amdhsa_system_sgpr_workgroup_id_y 1
		.amdhsa_system_sgpr_workgroup_id_z 0
		.amdhsa_system_sgpr_workgroup_info 0
		.amdhsa_system_vgpr_workitem_id 0
		.amdhsa_next_free_vgpr 26
		.amdhsa_next_free_sgpr 48
		.amdhsa_reserve_vcc 1
		.amdhsa_reserve_flat_scratch 0
		.amdhsa_float_round_mode_32 0
		.amdhsa_float_round_mode_16_64 0
		.amdhsa_float_denorm_mode_32 3
		.amdhsa_float_denorm_mode_16_64 3
		.amdhsa_dx10_clamp 1
		.amdhsa_ieee_mode 1
		.amdhsa_fp16_overflow 0
		.amdhsa_exception_fp_ieee_invalid_op 0
		.amdhsa_exception_fp_denorm_src 0
		.amdhsa_exception_fp_ieee_div_zero 0
		.amdhsa_exception_fp_ieee_overflow 0
		.amdhsa_exception_fp_ieee_underflow 0
		.amdhsa_exception_fp_ieee_inexact 0
		.amdhsa_exception_int_div_zero 0
	.end_amdhsa_kernel
	.text
.Lfunc_end0:
	.size	_Z19selective_scan_basePKfS0_S0_S0_S0_S0_S0_S0_biiiiPfS1_, .Lfunc_end0-_Z19selective_scan_basePKfS0_S0_S0_S0_S0_S0_S0_biiiiPfS1_
                                        ; -- End function
	.set _Z19selective_scan_basePKfS0_S0_S0_S0_S0_S0_S0_biiiiPfS1_.num_vgpr, 26
	.set _Z19selective_scan_basePKfS0_S0_S0_S0_S0_S0_S0_biiiiPfS1_.num_agpr, 0
	.set _Z19selective_scan_basePKfS0_S0_S0_S0_S0_S0_S0_biiiiPfS1_.numbered_sgpr, 48
	.set _Z19selective_scan_basePKfS0_S0_S0_S0_S0_S0_S0_biiiiPfS1_.num_named_barrier, 0
	.set _Z19selective_scan_basePKfS0_S0_S0_S0_S0_S0_S0_biiiiPfS1_.private_seg_size, 0
	.set _Z19selective_scan_basePKfS0_S0_S0_S0_S0_S0_S0_biiiiPfS1_.uses_vcc, 1
	.set _Z19selective_scan_basePKfS0_S0_S0_S0_S0_S0_S0_biiiiPfS1_.uses_flat_scratch, 0
	.set _Z19selective_scan_basePKfS0_S0_S0_S0_S0_S0_S0_biiiiPfS1_.has_dyn_sized_stack, 0
	.set _Z19selective_scan_basePKfS0_S0_S0_S0_S0_S0_S0_biiiiPfS1_.has_recursion, 0
	.set _Z19selective_scan_basePKfS0_S0_S0_S0_S0_S0_S0_biiiiPfS1_.has_indirect_call, 0
	.section	.AMDGPU.csdata,"",@progbits
; Kernel info:
; codeLenInByte = 1444
; TotalNumSgprs: 52
; NumVgprs: 26
; ScratchSize: 0
; MemoryBound: 0
; FloatMode: 240
; IeeeMode: 1
; LDSByteSize: 0 bytes/workgroup (compile time only)
; SGPRBlocks: 6
; VGPRBlocks: 6
; NumSGPRsForWavesPerEU: 52
; NumVGPRsForWavesPerEU: 26
; Occupancy: 9
; WaveLimiterHint : 0
; COMPUTE_PGM_RSRC2:SCRATCH_EN: 0
; COMPUTE_PGM_RSRC2:USER_SGPR: 6
; COMPUTE_PGM_RSRC2:TRAP_HANDLER: 0
; COMPUTE_PGM_RSRC2:TGID_X_EN: 1
; COMPUTE_PGM_RSRC2:TGID_Y_EN: 1
; COMPUTE_PGM_RSRC2:TGID_Z_EN: 0
; COMPUTE_PGM_RSRC2:TIDIG_COMP_CNT: 0
	.section	.text._Z26selective_scan_vllm_kernelI18SSMFwdKernelTraitsILi128ELi4ELi8ELb1ELb1ELb1EEEv13SSMParamsBase,"axG",@progbits,_Z26selective_scan_vllm_kernelI18SSMFwdKernelTraitsILi128ELi4ELi8ELb1ELb1ELb1EEEv13SSMParamsBase,comdat
	.protected	_Z26selective_scan_vllm_kernelI18SSMFwdKernelTraitsILi128ELi4ELi8ELb1ELb1ELb1EEEv13SSMParamsBase ; -- Begin function _Z26selective_scan_vllm_kernelI18SSMFwdKernelTraitsILi128ELi4ELi8ELb1ELb1ELb1EEEv13SSMParamsBase
	.globl	_Z26selective_scan_vllm_kernelI18SSMFwdKernelTraitsILi128ELi4ELi8ELb1ELb1ELb1EEEv13SSMParamsBase
	.p2align	8
	.type	_Z26selective_scan_vllm_kernelI18SSMFwdKernelTraitsILi128ELi4ELi8ELb1ELb1ELb1EEEv13SSMParamsBase,@function
_Z26selective_scan_vllm_kernelI18SSMFwdKernelTraitsILi128ELi4ELi8ELb1ELb1ELb1EEEv13SSMParamsBase: ; @_Z26selective_scan_vllm_kernelI18SSMFwdKernelTraitsILi128ELi4ELi8ELb1ELb1ELb1EEEv13SSMParamsBase
; %bb.0:
	s_load_dword s10, s[4:5], 0x4
	s_load_dword s33, s[4:5], 0x10
	s_add_u32 s0, s0, s8
	s_addc_u32 s1, s1, 0
	s_load_dwordx16 s[36:51], s[4:5], 0x18
	s_load_dwordx8 s[52:59], s[4:5], 0x58
	s_waitcnt lgkmcnt(0)
	s_abs_i32 s11, s10
	v_cvt_f32_u32_e32 v1, s11
	s_load_dwordx2 s[28:29], s[4:5], 0x88
	s_load_dwordx4 s[60:63], s[4:5], 0x78
	s_sub_i32 s4, 0, s11
	s_abs_i32 s13, s6
	v_rcp_iflag_f32_e32 v1, v1
	s_mov_b32 s68, 0
	s_ashr_i32 s12, s6, 31
	s_ashr_i32 s14, s10, 31
	v_mul_f32_e32 v1, 0x4f7ffffe, v1
	v_cvt_u32_f32_e32 v1, v1
	v_cmp_eq_u32_e64 s[34:35], 0, v0
	v_readfirstlane_b32 s5, v1
	s_mul_i32 s4, s4, s5
	s_mul_hi_u32 s4, s5, s4
	s_add_i32 s5, s5, s4
	s_mul_hi_u32 s15, s13, s5
	v_cmp_ne_u32_e64 s[4:5], 0, v0
	s_and_saveexec_b64 s[8:9], s[34:35]
; %bb.1:
	v_mov_b32_e32 v1, 0x7f
	v_mov_b32_e32 v2, 3
	;; [unrolled: 1-line block ×3, first 2 shown]
	ds_write_b64 v3, v[1:2] offset:36944
; %bb.2:
	s_or_b64 exec, exec, s[8:9]
	s_mul_i32 s9, s15, s11
	s_sub_i32 s9, s13, s9
	s_xor_b32 s8, s12, s14
	s_add_i32 s12, s15, 1
	s_sub_i32 s13, s9, s11
	s_cmp_ge_u32 s9, s11
	s_cselect_b32 s12, s12, s15
	s_cselect_b32 s9, s13, s9
	s_add_i32 s13, s12, 1
	s_cmp_ge_u32 s9, s11
	s_cselect_b32 s9, s13, s12
	s_xor_b32 s9, s9, s8
	s_sub_i32 s67, s9, s8
	s_mul_i32 s8, s67, s10
	s_sub_i32 s30, s6, s8
	s_waitcnt lgkmcnt(0)
	s_mul_i32 s8, s67, s60
	s_ashr_i32 s9, s8, 31
	s_lshl_b32 s66, s7, 9
	s_lshl_b64 s[64:65], s[8:9], 2
	s_add_u32 s10, s36, s64
	s_mul_i32 s8, s30, s61
	s_addc_u32 s11, s37, s65
	s_ashr_i32 s9, s8, 31
	s_lshl_b64 s[36:37], s[8:9], 2
	s_add_u32 s8, s10, s36
	s_addc_u32 s9, s11, s37
	v_lshlrev_b32_e32 v23, 2, v0
	s_add_u32 s10, s38, s64
	v_or_b32_e32 v1, s66, v23
	s_addc_u32 s11, s39, s65
	v_ashrrev_i32_e32 v2, 31, v1
	s_add_u32 s10, s10, s36
	v_lshlrev_b64 v[1:2], 2, v[1:2]
	s_addc_u32 s11, s11, s37
	v_mov_b32_e32 v3, s11
	v_add_co_u32_e32 v7, vcc, s10, v1
	v_addc_co_u32_e32 v8, vcc, v3, v2, vcc
	v_mov_b32_e32 v3, s9
	v_add_co_u32_e32 v9, vcc, s8, v1
	v_addc_co_u32_e32 v10, vcc, v3, v2, vcc
	s_barrier
	global_load_dwordx4 v[3:6], v[9:10], off
	global_load_dwordx4 v[15:18], v[7:8], off
	s_ashr_i32 s31, s30, 31
	s_lshl_b64 s[14:15], s[30:31], 2
	s_add_u32 s8, s48, s14
	s_addc_u32 s9, s49, s15
	s_load_dword s8, s[8:9], 0x0
	v_lshl_add_u32 v11, v0, 4, 0
	s_mov_b32 s12, 0x800000
	s_mov_b32 s17, 0x3f317217
	;; [unrolled: 1-line block ×3, first 2 shown]
	v_mov_b32_e32 v9, 0x41b17218
	s_mov_b32 s16, 0x41a00000
	v_add_u32_e32 v14, 0x810, v11
	v_mov_b32_e32 v10, 0
	ds_read_b64 v[7:8], v10 offset:36944
	s_mul_i32 s6, s6, s33
	v_cmp_gt_u32_e64 s[22:23], 2, v0
	v_cmp_lt_u32_e64 s[24:25], 63, v0
	s_mov_b32 s70, 0
	s_waitcnt vmcnt(1)
	ds_write2_b32 v11, v3, v4 offset0:4 offset1:5
	s_waitcnt vmcnt(0) lgkmcnt(0)
	v_add_f32_e32 v3, s8, v15
	v_add_f32_e32 v4, s8, v16
	v_mul_f32_e32 v15, 0x3fb8aa3b, v3
	v_add_f32_e32 v12, s8, v17
	v_mul_f32_e32 v16, 0x3fb8aa3b, v4
	v_exp_f32_e32 v15, v15
	v_mul_f32_e32 v17, 0x3fb8aa3b, v12
	v_exp_f32_e32 v16, v16
	v_exp_f32_e32 v17, v17
	v_add_f32_e32 v13, s8, v18
	v_mul_f32_e32 v18, 0x3fb8aa3b, v13
	v_add_f32_e32 v15, 1.0, v15
	v_exp_f32_e32 v18, v18
	v_add_f32_e32 v16, 1.0, v16
	v_cmp_gt_f32_e32 vcc, s12, v15
	v_add_f32_e32 v17, 1.0, v17
	v_cndmask_b32_e64 v19, 0, 32, vcc
	v_cmp_gt_f32_e64 s[8:9], s12, v16
	v_cndmask_b32_e64 v20, 0, 32, s[8:9]
	v_cmp_gt_f32_e64 s[10:11], s12, v17
	v_ldexp_f32 v15, v15, v19
	v_cndmask_b32_e64 v21, 0, 32, s[10:11]
	v_ldexp_f32 v16, v16, v20
	v_log_f32_e32 v15, v15
	v_add_f32_e32 v18, 1.0, v18
	v_ldexp_f32 v17, v17, v21
	v_log_f32_e32 v16, v16
	v_cmp_gt_f32_e64 s[12:13], s12, v18
	v_log_f32_e32 v17, v17
	v_cndmask_b32_e64 v22, 0, 32, s[12:13]
	v_ldexp_f32 v18, v18, v22
	v_mul_f32_e32 v22, 0x3f317217, v15
	v_mul_f32_e32 v24, 0x3f317217, v16
	v_fma_f32 v22, v15, s17, -v22
	v_mul_f32_e32 v25, 0x3f317217, v17
	v_fma_f32 v24, v16, s17, -v24
	v_fmac_f32_e32 v22, 0x3377d1cf, v15
	v_cndmask_b32_e32 v19, 0, v9, vcc
	v_fma_f32 v25, v17, s17, -v25
	v_fmac_f32_e32 v24, 0x3377d1cf, v16
	v_fmac_f32_e32 v22, 0x3f317217, v15
	v_cmp_lt_f32_e64 vcc, |v15|, s18
	v_fmac_f32_e32 v25, 0x3377d1cf, v17
	v_fmac_f32_e32 v24, 0x3f317217, v16
	v_cndmask_b32_e32 v15, v15, v22, vcc
	v_cmp_lt_f32_e64 vcc, |v16|, s18
	v_log_f32_e32 v18, v18
	v_fmac_f32_e32 v25, 0x3f317217, v17
	v_cndmask_b32_e32 v16, v16, v24, vcc
	v_cmp_lt_f32_e64 vcc, |v17|, s18
	v_cndmask_b32_e64 v20, 0, v9, s[8:9]
	v_cndmask_b32_e32 v17, v17, v25, vcc
	v_sub_f32_e32 v15, v15, v19
	v_cmp_lt_f32_e32 vcc, s16, v3
	v_sub_f32_e32 v16, v16, v20
	v_cndmask_b32_e32 v3, v15, v3, vcc
	v_cmp_lt_f32_e32 vcc, s16, v4
	v_cndmask_b32_e32 v4, v16, v4, vcc
	ds_write2_b32 v14, v3, v4 offset1:1
	v_mul_f32_e32 v4, 0x3f317217, v18
	v_cndmask_b32_e64 v21, 0, v9, s[10:11]
	v_fma_f32 v4, v18, s17, -v4
	v_sub_f32_e32 v17, v17, v21
	v_cmp_lt_f32_e32 vcc, s16, v12
	v_fmac_f32_e32 v4, 0x3377d1cf, v18
	v_cndmask_b32_e32 v3, v17, v12, vcc
	v_fmac_f32_e32 v4, 0x3f317217, v18
	v_cmp_lt_f32_e64 vcc, |v18|, s18
	v_cndmask_b32_e32 v4, v18, v4, vcc
	v_cndmask_b32_e64 v9, 0, v9, s[12:13]
	s_add_u32 s8, s46, s14
	v_sub_f32_e32 v4, v4, v9
	v_cmp_lt_f32_e32 vcc, s16, v13
	s_addc_u32 s9, s47, s15
	v_add_u32_e32 v17, 0x818, v11
	v_cndmask_b32_e32 v4, v4, v13, vcc
	ds_write2_b32 v11, v5, v6 offset0:6 offset1:7
	ds_write2_b32 v17, v3, v4 offset1:1
	s_waitcnt lgkmcnt(0)
	s_barrier
	s_load_dword s8, s[8:9], 0x0
	ds_read2_b32 v[3:4], v11 offset0:4 offset1:5
	ds_read2_b32 v[5:6], v11 offset0:6 offset1:7
	s_lshl_b32 s46, s30, 3
	s_mul_i32 s47, s67, s62
	s_cmp_lg_u32 s7, 0
	s_waitcnt lgkmcnt(0)
	v_mul_f32_e32 v16, s8, v3
	v_mbcnt_lo_u32_b32 v3, -1, 0
	v_mbcnt_hi_u32_b32 v3, -1, v3
	v_mul_f32_e32 v15, s8, v4
	v_and_b32_e32 v4, 15, v3
	v_mul_f32_e32 v13, s8, v5
	v_mul_f32_e32 v12, s8, v6
	v_cmp_ne_u32_e64 s[8:9], 0, v4
	v_cmp_lt_u32_e64 s[10:11], 1, v4
	v_cmp_lt_u32_e64 s[12:13], 3, v4
	;; [unrolled: 1-line block ×3, first 2 shown]
	v_and_b32_e32 v4, 16, v3
	v_cmp_ne_u32_e64 s[16:17], 0, v4
	v_or_b32_e32 v4, 63, v0
	v_cmp_eq_u32_e64 s[20:21], v0, v4
	v_subrev_co_u32_e64 v4, s[26:27], 1, v3
	v_and_b32_e32 v5, 64, v3
	v_cmp_lt_i32_e32 vcc, v4, v5
	v_cmp_lt_u32_e64 s[18:19], 31, v3
	v_cndmask_b32_e32 v4, v4, v3, vcc
	v_and_b32_e32 v3, 1, v3
	v_lshlrev_b32_e32 v18, 2, v4
	s_cselect_b64 s[38:39], -1, 0
	s_mul_i32 s67, s67, s28
	s_mul_i32 s62, s30, s29
	v_lshrrev_b32_e32 v4, 3, v0
	v_cmp_eq_u32_e64 s[28:29], 0, v3
	v_lshlrev_b32_e32 v3, 3, v8
	s_add_i32 s47, s47, s66
	v_and_b32_e32 v4, 8, v4
	v_mov_b32_e32 v21, v3
	v_add_u32_e32 v3, s47, v23
	s_ashr_i32 s47, s46, 31
	s_add_i32 s62, s62, s67
	v_add_u32_e32 v19, 0, v4
	v_lshlrev_b32_e32 v4, 3, v0
	s_ashr_i32 s69, s7, 31
	s_lshl_b32 s6, s6, 3
	s_lshl_b64 s[46:47], s[46:47], 2
	v_sub_u32_e32 v4, 0, v4
	s_add_u32 s40, s40, s46
	v_add_u32_e32 v20, -8, v19
	v_cmp_eq_u32_e64 s[30:31], v0, v7
	v_add_u32_e32 v22, 0x1010, v11
	s_addc_u32 s41, s41, s47
	v_add_u32_e32 v23, v11, v4
	s_mov_b32 s46, s62
	s_branch .LBB1_4
.LBB1_3:                                ;   in Loop: Header=BB1_4 Depth=1
	s_or_b64 exec, exec, s[48:49]
	s_addk_i32 s70, 0x800
	s_add_i32 s68, s68, 4
	s_add_i32 s46, s46, 1
	;; [unrolled: 1-line block ×3, first 2 shown]
	s_add_u32 s40, s40, 4
	v_fmac_f32_e32 v25, v5, v31
	v_fmac_f32_e32 v32, v5, v26
	;; [unrolled: 1-line block ×4, first 2 shown]
	s_addc_u32 s41, s41, 0
	s_waitcnt lgkmcnt(1)
	v_fmac_f32_e32 v16, v8, v25
	v_fmac_f32_e32 v15, v9, v32
	s_waitcnt lgkmcnt(0)
	v_fmac_f32_e32 v13, v6, v30
	v_fmac_f32_e32 v12, v7, v29
	s_cmpk_eq_i32 s70, 0x4000
	v_add_u32_e32 v3, s63, v3
	s_waitcnt vmcnt(0)
	s_barrier
	s_cbranch_scc1 .LBB1_32
.LBB1_4:                                ; =>This Inner Loop Header: Depth=1
	s_and_saveexec_b64 s[48:49], s[34:35]
	s_cbranch_execz .LBB1_9
; %bb.5:                                ;   in Loop: Header=BB1_4 Depth=1
	s_and_b64 vcc, exec, s[38:39]
	s_cbranch_vccz .LBB1_31
; %bb.6:                                ;   in Loop: Header=BB1_4 Depth=1
	s_ashr_i32 s47, s6, 31
	s_add_u32 s60, s7, s6
	s_addc_u32 s61, s69, s47
	s_lshl_b64 s[60:61], s[60:61], 2
	s_add_u32 s66, s56, s60
	s_addc_u32 s67, s57, s61
	global_load_dword v4, v10, s[66:67] offset:-4
	s_add_u32 s47, s58, s60
	s_addc_u32 s61, s59, s61
	s_add_u32 s60, s47, -4
	s_addc_u32 s61, s61, -1
	s_cbranch_execnz .LBB1_8
.LBB1_7:                                ;   in Loop: Header=BB1_4 Depth=1
	s_ashr_i32 s47, s46, 31
	s_lshl_b64 s[60:61], s[46:47], 2
	s_add_u32 s60, s52, s60
	s_addc_u32 s61, s53, s61
	s_waitcnt vmcnt(0)
	v_mov_b32_e32 v4, 1.0
.LBB1_8:                                ;   in Loop: Header=BB1_4 Depth=1
	global_load_dword v5, v10, s[60:61]
	v_mov_b32_e32 v6, s68
	v_add_u32_e32 v6, 0x9000, v6
	s_waitcnt vmcnt(0)
	ds_write2_b32 v6, v4, v5 offset0:4 offset1:12
.LBB1_9:                                ;   in Loop: Header=BB1_4 Depth=1
	s_or_b64 exec, exec, s[48:49]
	v_ashrrev_i32_e32 v4, 31, v3
	v_lshlrev_b64 v[8:9], 2, v[3:4]
	v_mov_b32_e32 v5, s43
	v_add_co_u32_e32 v4, vcc, s42, v8
	v_addc_co_u32_e32 v5, vcc, v5, v9, vcc
	v_mov_b32_e32 v24, s45
	v_add_co_u32_e32 v8, vcc, s44, v8
	global_load_dwordx4 v[4:7], v[4:5], off
	v_addc_co_u32_e32 v9, vcc, v24, v9, vcc
	global_load_dwordx4 v[25:28], v[8:9], off
	v_add_u32_e32 v9, s70, v22
	v_add_u32_e32 v8, 0x4000, v9
	;; [unrolled: 1-line block ×3, first 2 shown]
	s_waitcnt vmcnt(1)
	ds_write2_b32 v9, v4, v5 offset1:1
	s_waitcnt vmcnt(0)
	ds_write2_b32 v8, v25, v26 offset1:1
	ds_write2_b32 v9, v6, v7 offset0:2 offset1:3
	ds_write2_b32 v24, v27, v28 offset1:1
	s_waitcnt lgkmcnt(0)
	s_barrier
	global_load_dword v35, v10, s[40:41]
	v_mov_b32_e32 v4, s68
	v_add_u32_e32 v4, 0x9000, v4
	ds_read2_b32 v[6:7], v14 offset1:1
	ds_read2_b32 v[25:26], v9 offset1:1
	ds_read2_b32 v[27:28], v9 offset0:2 offset1:3
	ds_read2_b32 v[29:30], v17 offset1:1
	ds_read2_b32 v[31:32], v11 offset0:4 offset1:5
	ds_read2_b32 v[33:34], v11 offset0:6 offset1:7
	;; [unrolled: 1-line block ×3, first 2 shown]
	s_waitcnt lgkmcnt(5)
	v_mul_f32_e32 v9, v6, v25
	v_mul_f32_e32 v26, v7, v26
	s_waitcnt lgkmcnt(3)
	v_mul_f32_e32 v27, v29, v27
	s_waitcnt lgkmcnt(2)
	v_mul_f32_e32 v25, v31, v9
	v_mul_f32_e32 v9, v32, v26
	s_waitcnt lgkmcnt(1)
	v_mul_f32_e32 v33, v33, v27
	v_mul_f32_e32 v28, v30, v28
	;; [unrolled: 1-line block ×3, first 2 shown]
	s_waitcnt vmcnt(0)
	v_mul_f32_e32 v6, v6, v35
	v_mul_f32_e32 v7, v7, v35
	;; [unrolled: 1-line block ×7, first 2 shown]
	v_exp_f32_e32 v31, v6
	v_exp_f32_e32 v37, v7
	v_mul_f32_e32 v6, 0x3fb8aa3b, v27
	v_exp_f32_e32 v36, v26
	v_exp_f32_e32 v35, v6
	v_mul_f32_e32 v26, v31, v37
	v_fma_f32 v32, v25, v37, v9
	v_mul_f32_e32 v27, v26, v36
	v_fma_f32 v30, v32, v36, v33
	;; [unrolled: 2-line block ×3, first 2 shown]
	v_mov_b32_e32 v38, v29
	v_mov_b32_dpp v7, v28 row_shr:1 row_mask:0xf bank_mask:0xf
	v_mov_b32_dpp v6, v29 row_shr:1 row_mask:0xf bank_mask:0xf
	v_mov_b32_e32 v39, v28
	s_and_saveexec_b64 s[48:49], s[8:9]
; %bb.10:                               ;   in Loop: Header=BB1_4 Depth=1
	v_mov_b32_e32 v38, v29
	v_mul_f32_e32 v39, v28, v7
	v_fmac_f32_e32 v38, v28, v6
; %bb.11:                               ;   in Loop: Header=BB1_4 Depth=1
	s_or_b64 exec, exec, s[48:49]
	v_mov_b32_dpp v7, v39 row_shr:2 row_mask:0xf bank_mask:0xf
	v_mov_b32_dpp v6, v38 row_shr:2 row_mask:0xf bank_mask:0xf
	s_and_saveexec_b64 s[48:49], s[10:11]
; %bb.12:                               ;   in Loop: Header=BB1_4 Depth=1
	v_mul_f32_e32 v7, v39, v7
	v_fmac_f32_e32 v38, v39, v6
	v_mov_b32_e32 v39, v7
; %bb.13:                               ;   in Loop: Header=BB1_4 Depth=1
	s_or_b64 exec, exec, s[48:49]
	s_nop 0
	v_mov_b32_dpp v7, v39 row_shr:4 row_mask:0xf bank_mask:0xf
	v_mov_b32_dpp v6, v38 row_shr:4 row_mask:0xf bank_mask:0xf
	s_and_saveexec_b64 s[48:49], s[12:13]
; %bb.14:                               ;   in Loop: Header=BB1_4 Depth=1
	v_mul_f32_e32 v7, v39, v7
	v_fmac_f32_e32 v38, v39, v6
	v_mov_b32_e32 v39, v7
; %bb.15:                               ;   in Loop: Header=BB1_4 Depth=1
	s_or_b64 exec, exec, s[48:49]
	s_nop 0
	;; [unrolled: 10-line block ×3, first 2 shown]
	v_mov_b32_dpp v7, v39 row_bcast:15 row_mask:0xf bank_mask:0xf
	v_mov_b32_dpp v6, v38 row_bcast:15 row_mask:0xf bank_mask:0xf
	s_and_saveexec_b64 s[48:49], s[16:17]
; %bb.18:                               ;   in Loop: Header=BB1_4 Depth=1
	v_mul_f32_e32 v7, v39, v7
	v_fmac_f32_e32 v38, v39, v6
	v_mov_b32_e32 v39, v7
; %bb.19:                               ;   in Loop: Header=BB1_4 Depth=1
	s_or_b64 exec, exec, s[48:49]
	s_nop 0
	v_mov_b32_dpp v6, v39 row_bcast:31 row_mask:0xf bank_mask:0xf
	v_mov_b32_dpp v7, v38 row_bcast:31 row_mask:0xf bank_mask:0xf
	s_and_saveexec_b64 s[48:49], s[18:19]
; %bb.20:                               ;   in Loop: Header=BB1_4 Depth=1
	v_fmac_f32_e32 v38, v39, v7
	v_mul_f32_e32 v39, v39, v6
; %bb.21:                               ;   in Loop: Header=BB1_4 Depth=1
	s_or_b64 exec, exec, s[48:49]
	s_and_saveexec_b64 s[48:49], s[20:21]
; %bb.22:                               ;   in Loop: Header=BB1_4 Depth=1
	ds_write2_b32 v19, v39, v38 offset1:1
; %bb.23:                               ;   in Loop: Header=BB1_4 Depth=1
	s_or_b64 exec, exec, s[48:49]
	s_waitcnt lgkmcnt(0)
	s_barrier
	s_and_saveexec_b64 s[48:49], s[22:23]
	s_cbranch_execz .LBB1_25
; %bb.24:                               ;   in Loop: Header=BB1_4 Depth=1
	ds_read2_b32 v[6:7], v23 offset1:1
	s_waitcnt lgkmcnt(0)
	s_nop 0
	v_mov_b32_dpp v40, v6 row_shr:1 row_mask:0xf bank_mask:0xf
	v_mov_b32_dpp v41, v7 row_shr:1 row_mask:0xf bank_mask:0xf
	v_fma_f32 v41, v6, v41, v7
	v_mul_f32_e32 v40, v6, v40
	v_cndmask_b32_e64 v6, v40, v6, s[28:29]
	v_cndmask_b32_e64 v7, v41, v7, s[28:29]
	ds_write2_b32 v23, v6, v7 offset1:1
.LBB1_25:                               ;   in Loop: Header=BB1_4 Depth=1
	s_or_b64 exec, exec, s[48:49]
	s_waitcnt lgkmcnt(0)
	s_barrier
                                        ; implicit-def: $vgpr7
	s_and_saveexec_b64 s[48:49], s[24:25]
	s_cbranch_execz .LBB1_27
; %bb.26:                               ;   in Loop: Header=BB1_4 Depth=1
	ds_read2_b32 v[6:7], v20 offset1:1
	s_waitcnt lgkmcnt(0)
	v_mul_f32_e32 v40, v39, v6
	v_fmac_f32_e32 v38, v39, v7
	v_mov_b32_e32 v39, v40
.LBB1_27:                               ;   in Loop: Header=BB1_4 Depth=1
	s_or_b64 exec, exec, s[48:49]
	ds_bpermute_b32 v39, v18, v39
	ds_bpermute_b32 v38, v18, v38
	s_and_saveexec_b64 s[48:49], s[4:5]
	s_cbranch_execz .LBB1_29
; %bb.28:                               ;   in Loop: Header=BB1_4 Depth=1
	s_waitcnt lgkmcnt(0)
	v_cndmask_b32_e64 v7, v38, v7, s[26:27]
	v_cndmask_b32_e64 v6, v39, v6, s[26:27]
	v_fmac_f32_e32 v25, v31, v7
	v_mul_f32_e32 v6, v31, v6
	v_fmac_f32_e32 v9, v25, v37
	v_mul_f32_e32 v26, v6, v37
	;; [unrolled: 2-line block ×4, first 2 shown]
	v_mov_b32_e32 v29, v34
	v_mov_b32_e32 v30, v33
	;; [unrolled: 1-line block ×4, first 2 shown]
	;;#ASMSTART
	;;#ASMEND
.LBB1_29:                               ;   in Loop: Header=BB1_4 Depth=1
	s_or_b64 exec, exec, s[48:49]
	buffer_store_dword v31, off, s[0:3], 0
	buffer_store_dword v25, off, s[0:3], 0 offset:4
	buffer_store_dword v26, off, s[0:3], 0 offset:8
	;; [unrolled: 1-line block ×7, first 2 shown]
	s_waitcnt vmcnt(0) lgkmcnt(0)
	s_barrier
	ds_read2_b32 v[8:9], v8 offset1:1
	ds_read2_b32 v[6:7], v24 offset1:1
	s_and_saveexec_b64 s[48:49], s[30:31]
	s_cbranch_execz .LBB1_3
; %bb.30:                               ;   in Loop: Header=BB1_4 Depth=1
	buffer_load_dword v24, v21, s[0:3], 0 offen
	buffer_load_dword v33, v21, s[0:3], 0 offen offset:4
	s_add_i32 s60, s7, s6
	s_ashr_i32 s61, s60, 31
	s_lshl_b64 s[60:61], s[60:61], 2
	s_add_u32 s66, s56, s60
	v_mov_b32_e32 v34, s68
	s_addc_u32 s67, s57, s61
	v_add_u32_e32 v34, 0x9000, v34
	s_add_u32 s60, s58, s60
	s_addc_u32 s61, s59, s61
	s_waitcnt vmcnt(1)
	v_mul_f32_e32 v4, v4, v24
	s_waitcnt vmcnt(0)
	v_fmac_f32_e32 v33, v5, v24
	global_store_dword v10, v4, s[66:67]
	global_store_dword v10, v33, s[60:61]
	ds_write2_b32 v34, v4, v33 offset0:4 offset1:12
	s_branch .LBB1_3
.LBB1_31:                               ;   in Loop: Header=BB1_4 Depth=1
                                        ; implicit-def: $sgpr60_sgpr61
                                        ; implicit-def: $vgpr4
	s_branch .LBB1_7
.LBB1_32:
	s_add_u32 s4, s50, s64
	s_addc_u32 s5, s51, s65
	s_add_u32 s4, s4, s36
	s_addc_u32 s5, s5, s37
	v_mov_b32_e32 v4, s5
	v_add_co_u32_e32 v3, vcc, s4, v1
	v_addc_co_u32_e32 v4, vcc, v4, v2, vcc
	global_load_dword v5, v[3:4], off
	s_waitcnt vmcnt(0)
	v_mul_f32_e32 v6, 0xbfb8aa3b, v5
	v_exp_f32_e32 v6, v6
	v_add_f32_e32 v6, 1.0, v6
	v_div_scale_f32 v7, s[4:5], v6, v6, v5
	v_div_scale_f32 v8, vcc, v5, v6, v5
	s_add_u32 s4, s54, s64
	s_addc_u32 s5, s55, s65
	s_add_u32 s4, s4, s36
	s_addc_u32 s5, s5, s37
	s_add_i32 s33, s33, -1
	s_cmp_eq_u32 s7, s33
	v_rcp_f32_e32 v9, v7
	v_fma_f32 v10, -v7, v9, 1.0
	v_fmac_f32_e32 v9, v10, v9
	v_mul_f32_e32 v10, v8, v9
	v_fma_f32 v11, -v7, v10, v8
	v_fmac_f32_e32 v10, v11, v9
	v_fma_f32 v7, -v7, v10, v8
	v_div_fmas_f32 v7, v7, v9, v10
	v_mov_b32_e32 v8, s5
	v_add_co_u32_e32 v1, vcc, s4, v1
	v_addc_co_u32_e32 v2, vcc, v8, v2, vcc
	v_div_fixup_f32 v5, v7, v6, v5
	v_mul_f32_e32 v5, v16, v5
	global_store_dword v[1:2], v5, off
	global_load_dword v5, v[3:4], off offset:4
	s_waitcnt vmcnt(0)
	v_mul_f32_e32 v6, 0xbfb8aa3b, v5
	v_exp_f32_e32 v6, v6
	v_add_f32_e32 v6, 1.0, v6
	v_div_scale_f32 v7, s[4:5], v6, v6, v5
	v_div_scale_f32 v8, vcc, v5, v6, v5
	v_rcp_f32_e32 v9, v7
	v_fma_f32 v10, -v7, v9, 1.0
	v_fmac_f32_e32 v9, v10, v9
	v_mul_f32_e32 v10, v8, v9
	v_fma_f32 v11, -v7, v10, v8
	v_fmac_f32_e32 v10, v11, v9
	v_fma_f32 v7, -v7, v10, v8
	v_div_fmas_f32 v7, v7, v9, v10
	v_div_fixup_f32 v5, v7, v6, v5
	v_mul_f32_e32 v5, v15, v5
	global_store_dword v[1:2], v5, off offset:4
	global_load_dword v5, v[3:4], off offset:8
	s_waitcnt vmcnt(0)
	v_mul_f32_e32 v6, 0xbfb8aa3b, v5
	v_exp_f32_e32 v6, v6
	v_add_f32_e32 v6, 1.0, v6
	v_div_scale_f32 v7, s[4:5], v6, v6, v5
	v_div_scale_f32 v8, vcc, v5, v6, v5
	v_rcp_f32_e32 v9, v7
	v_fma_f32 v10, -v7, v9, 1.0
	v_fmac_f32_e32 v9, v10, v9
	v_mul_f32_e32 v10, v8, v9
	v_fma_f32 v11, -v7, v10, v8
	v_fmac_f32_e32 v10, v11, v9
	v_fma_f32 v7, -v7, v10, v8
	v_div_fmas_f32 v7, v7, v9, v10
	v_div_fixup_f32 v5, v7, v6, v5
	v_mul_f32_e32 v5, v13, v5
	global_store_dword v[1:2], v5, off offset:8
	global_load_dword v3, v[3:4], off offset:12
	s_waitcnt vmcnt(0)
	v_mul_f32_e32 v4, 0xbfb8aa3b, v3
	v_exp_f32_e32 v4, v4
	v_add_f32_e32 v4, 1.0, v4
	v_div_scale_f32 v5, s[4:5], v4, v4, v3
	v_div_scale_f32 v6, vcc, v3, v4, v3
	s_cselect_b64 s[4:5], -1, 0
	v_rcp_f32_e32 v7, v5
	v_fma_f32 v8, -v5, v7, 1.0
	v_fmac_f32_e32 v7, v8, v7
	v_mul_f32_e32 v8, v6, v7
	v_fma_f32 v9, -v5, v8, v6
	v_fmac_f32_e32 v8, v9, v7
	v_fma_f32 v5, -v5, v8, v6
	v_div_fmas_f32 v5, v5, v7, v8
	v_cmp_gt_u32_e32 vcc, 8, v0
	s_and_b64 s[4:5], s[4:5], vcc
	v_div_fixup_f32 v3, v5, v4, v3
	v_mul_f32_e32 v3, v12, v3
	global_store_dword v[1:2], v3, off offset:12
	s_and_saveexec_b64 s[6:7], s[4:5]
	s_cbranch_execz .LBB1_34
; %bb.33:
	v_lshl_add_u32 v1, v0, 2, 0
	v_add_u32_e32 v0, s62, v0
	ds_read_b32 v2, v1 offset:36912
	v_ashrrev_i32_e32 v1, 31, v0
	v_lshlrev_b64 v[0:1], 2, v[0:1]
	v_mov_b32_e32 v3, s53
	v_add_co_u32_e32 v0, vcc, s52, v0
	v_addc_co_u32_e32 v1, vcc, v3, v1, vcc
	s_waitcnt lgkmcnt(0)
	global_store_dword v[0:1], v2, off
.LBB1_34:
	s_endpgm
	.section	.rodata,"a",@progbits
	.p2align	6, 0x0
	.amdhsa_kernel _Z26selective_scan_vllm_kernelI18SSMFwdKernelTraitsILi128ELi4ELi8ELb1ELb1ELb1EEEv13SSMParamsBase
		.amdhsa_group_segment_fixed_size 0
		.amdhsa_private_segment_fixed_size 48
		.amdhsa_kernarg_size 144
		.amdhsa_user_sgpr_count 6
		.amdhsa_user_sgpr_private_segment_buffer 1
		.amdhsa_user_sgpr_dispatch_ptr 0
		.amdhsa_user_sgpr_queue_ptr 0
		.amdhsa_user_sgpr_kernarg_segment_ptr 1
		.amdhsa_user_sgpr_dispatch_id 0
		.amdhsa_user_sgpr_flat_scratch_init 0
		.amdhsa_user_sgpr_private_segment_size 0
		.amdhsa_uses_dynamic_stack 0
		.amdhsa_system_sgpr_private_segment_wavefront_offset 1
		.amdhsa_system_sgpr_workgroup_id_x 1
		.amdhsa_system_sgpr_workgroup_id_y 1
		.amdhsa_system_sgpr_workgroup_id_z 0
		.amdhsa_system_sgpr_workgroup_info 0
		.amdhsa_system_vgpr_workitem_id 0
		.amdhsa_next_free_vgpr 42
		.amdhsa_next_free_sgpr 71
		.amdhsa_reserve_vcc 1
		.amdhsa_reserve_flat_scratch 0
		.amdhsa_float_round_mode_32 0
		.amdhsa_float_round_mode_16_64 0
		.amdhsa_float_denorm_mode_32 3
		.amdhsa_float_denorm_mode_16_64 3
		.amdhsa_dx10_clamp 1
		.amdhsa_ieee_mode 1
		.amdhsa_fp16_overflow 0
		.amdhsa_exception_fp_ieee_invalid_op 0
		.amdhsa_exception_fp_denorm_src 0
		.amdhsa_exception_fp_ieee_div_zero 0
		.amdhsa_exception_fp_ieee_overflow 0
		.amdhsa_exception_fp_ieee_underflow 0
		.amdhsa_exception_fp_ieee_inexact 0
		.amdhsa_exception_int_div_zero 0
	.end_amdhsa_kernel
	.section	.text._Z26selective_scan_vllm_kernelI18SSMFwdKernelTraitsILi128ELi4ELi8ELb1ELb1ELb1EEEv13SSMParamsBase,"axG",@progbits,_Z26selective_scan_vllm_kernelI18SSMFwdKernelTraitsILi128ELi4ELi8ELb1ELb1ELb1EEEv13SSMParamsBase,comdat
.Lfunc_end1:
	.size	_Z26selective_scan_vllm_kernelI18SSMFwdKernelTraitsILi128ELi4ELi8ELb1ELb1ELb1EEEv13SSMParamsBase, .Lfunc_end1-_Z26selective_scan_vllm_kernelI18SSMFwdKernelTraitsILi128ELi4ELi8ELb1ELb1ELb1EEEv13SSMParamsBase
                                        ; -- End function
	.set _Z26selective_scan_vllm_kernelI18SSMFwdKernelTraitsILi128ELi4ELi8ELb1ELb1ELb1EEEv13SSMParamsBase.num_vgpr, 42
	.set _Z26selective_scan_vllm_kernelI18SSMFwdKernelTraitsILi128ELi4ELi8ELb1ELb1ELb1EEEv13SSMParamsBase.num_agpr, 0
	.set _Z26selective_scan_vllm_kernelI18SSMFwdKernelTraitsILi128ELi4ELi8ELb1ELb1ELb1EEEv13SSMParamsBase.numbered_sgpr, 71
	.set _Z26selective_scan_vllm_kernelI18SSMFwdKernelTraitsILi128ELi4ELi8ELb1ELb1ELb1EEEv13SSMParamsBase.num_named_barrier, 0
	.set _Z26selective_scan_vllm_kernelI18SSMFwdKernelTraitsILi128ELi4ELi8ELb1ELb1ELb1EEEv13SSMParamsBase.private_seg_size, 48
	.set _Z26selective_scan_vllm_kernelI18SSMFwdKernelTraitsILi128ELi4ELi8ELb1ELb1ELb1EEEv13SSMParamsBase.uses_vcc, 1
	.set _Z26selective_scan_vllm_kernelI18SSMFwdKernelTraitsILi128ELi4ELi8ELb1ELb1ELb1EEEv13SSMParamsBase.uses_flat_scratch, 0
	.set _Z26selective_scan_vllm_kernelI18SSMFwdKernelTraitsILi128ELi4ELi8ELb1ELb1ELb1EEEv13SSMParamsBase.has_dyn_sized_stack, 0
	.set _Z26selective_scan_vllm_kernelI18SSMFwdKernelTraitsILi128ELi4ELi8ELb1ELb1ELb1EEEv13SSMParamsBase.has_recursion, 0
	.set _Z26selective_scan_vllm_kernelI18SSMFwdKernelTraitsILi128ELi4ELi8ELb1ELb1ELb1EEEv13SSMParamsBase.has_indirect_call, 0
	.section	.AMDGPU.csdata,"",@progbits
; Kernel info:
; codeLenInByte = 3100
; TotalNumSgprs: 75
; NumVgprs: 42
; ScratchSize: 48
; MemoryBound: 0
; FloatMode: 240
; IeeeMode: 1
; LDSByteSize: 0 bytes/workgroup (compile time only)
; SGPRBlocks: 9
; VGPRBlocks: 10
; NumSGPRsForWavesPerEU: 75
; NumVGPRsForWavesPerEU: 42
; Occupancy: 5
; WaveLimiterHint : 0
; COMPUTE_PGM_RSRC2:SCRATCH_EN: 1
; COMPUTE_PGM_RSRC2:USER_SGPR: 6
; COMPUTE_PGM_RSRC2:TRAP_HANDLER: 0
; COMPUTE_PGM_RSRC2:TGID_X_EN: 1
; COMPUTE_PGM_RSRC2:TGID_Y_EN: 1
; COMPUTE_PGM_RSRC2:TGID_Z_EN: 0
; COMPUTE_PGM_RSRC2:TIDIG_COMP_CNT: 0
	.section	.text._Z26selective_scan_vllm_kernelI18SSMFwdKernelTraitsILi128ELi4ELi8ELb1ELb1ELb0EEEv13SSMParamsBase,"axG",@progbits,_Z26selective_scan_vllm_kernelI18SSMFwdKernelTraitsILi128ELi4ELi8ELb1ELb1ELb0EEEv13SSMParamsBase,comdat
	.protected	_Z26selective_scan_vllm_kernelI18SSMFwdKernelTraitsILi128ELi4ELi8ELb1ELb1ELb0EEEv13SSMParamsBase ; -- Begin function _Z26selective_scan_vllm_kernelI18SSMFwdKernelTraitsILi128ELi4ELi8ELb1ELb1ELb0EEEv13SSMParamsBase
	.globl	_Z26selective_scan_vllm_kernelI18SSMFwdKernelTraitsILi128ELi4ELi8ELb1ELb1ELb0EEEv13SSMParamsBase
	.p2align	8
	.type	_Z26selective_scan_vllm_kernelI18SSMFwdKernelTraitsILi128ELi4ELi8ELb1ELb1ELb0EEEv13SSMParamsBase,@function
_Z26selective_scan_vllm_kernelI18SSMFwdKernelTraitsILi128ELi4ELi8ELb1ELb1ELb0EEEv13SSMParamsBase: ; @_Z26selective_scan_vllm_kernelI18SSMFwdKernelTraitsILi128ELi4ELi8ELb1ELb1ELb0EEEv13SSMParamsBase
; %bb.0:
	s_load_dwordx2 s[18:19], s[4:5], 0x4
	s_add_u32 s0, s0, s8
	s_addc_u32 s1, s1, 0
	s_load_dwordx16 s[48:63], s[4:5], 0x18
	s_load_dwordx2 s[40:41], s[4:5], 0x88
	s_load_dwordx4 s[72:75], s[4:5], 0x78
	s_abs_i32 s12, s6
	s_waitcnt lgkmcnt(0)
	s_abs_i32 s11, s18
	v_cvt_f32_u32_e32 v1, s11
	s_sub_i32 s8, 0, s11
	s_ashr_i32 s13, s6, 31
	s_lshl_b32 s10, s7, 9
	v_rcp_iflag_f32_e32 v1, v1
	v_cmp_ne_u32_e64 s[44:45], 0, v0
	s_ashr_i32 s14, s18, 31
	v_cmp_eq_u32_e64 s[46:47], 0, v0
	v_mul_f32_e32 v1, 0x4f7ffffe, v1
	v_cvt_u32_f32_e32 v1, v1
	v_readfirstlane_b32 s9, v1
	s_mul_i32 s8, s8, s9
	s_mul_hi_u32 s8, s9, s8
	s_add_i32 s9, s9, s8
	s_mul_hi_u32 s15, s12, s9
	s_and_saveexec_b64 s[8:9], s[46:47]
	s_cbranch_execz .LBB2_2
; %bb.1:
	s_add_i32 s16, s10, 0x200
	s_min_i32 s16, s16, s19
	s_not_b32 s17, s10
	s_add_i32 s16, s16, s17
	s_ashr_i32 s17, s16, 31
	s_lshr_b32 s17, s17, 30
	s_add_i32 s17, s16, s17
	s_ashr_i32 s20, s17, 2
	s_and_b32 s17, s17, -4
	s_sub_i32 s16, s16, s17
	v_mov_b32_e32 v1, s20
	v_mov_b32_e32 v2, s16
	;; [unrolled: 1-line block ×3, first 2 shown]
	ds_write_b64 v3, v[1:2] offset:36944
.LBB2_2:
	s_or_b64 exec, exec, s[8:9]
	s_mul_i32 s9, s15, s11
	s_sub_i32 s9, s12, s9
	s_xor_b32 s8, s13, s14
	s_add_i32 s12, s15, 1
	s_sub_i32 s13, s9, s11
	s_cmp_ge_u32 s9, s11
	s_cselect_b32 s12, s12, s15
	s_cselect_b32 s9, s13, s9
	s_add_i32 s13, s12, 1
	s_cmp_ge_u32 s9, s11
	s_cselect_b32 s9, s13, s12
	s_xor_b32 s9, s9, s8
	s_sub_i32 s80, s9, s8
	s_mul_i32 s8, s80, s18
	s_sub_i32 s42, s6, s8
	s_mul_i32 s8, s80, s72
	s_ashr_i32 s9, s8, 31
	s_lshl_b64 s[76:77], s[8:9], 2
	s_add_u32 s11, s48, s76
	s_mul_i32 s8, s42, s73
	s_addc_u32 s12, s49, s77
	s_ashr_i32 s9, s8, 31
	s_lshl_b64 s[48:49], s[8:9], 2
	v_mov_b32_e32 v7, 0
	s_add_u32 s18, s11, s48
	s_waitcnt lgkmcnt(0)
	s_barrier
	ds_read_b64 v[3:4], v7 offset:36944
	s_addc_u32 s26, s12, s49
	s_ashr_i32 s43, s42, 31
	v_lshlrev_b32_e32 v5, 2, v0
	s_lshl_b64 s[20:21], s[42:43], 2
	v_add_u32_e32 v1, s10, v5
	s_add_u32 s12, s60, s20
	s_addc_u32 s13, s61, s21
	v_cmp_le_i32_e64 s[10:11], s19, v1
	v_cmp_gt_i32_e64 s[8:9], s19, v1
	v_ashrrev_i32_e32 v2, 31, v1
	v_mov_b32_e32 v6, 0
	s_and_saveexec_b64 s[14:15], s[8:9]
	s_cbranch_execz .LBB2_4
; %bb.3:
	v_lshlrev_b64 v[8:9], 2, v[1:2]
	v_mov_b32_e32 v6, s26
	v_add_co_u32_e32 v8, vcc, s18, v8
	v_addc_co_u32_e32 v9, vcc, v6, v9, vcc
	global_load_dword v6, v[8:9], off
.LBB2_4:
	s_or_b64 exec, exec, s[14:15]
	s_load_dword s24, s[12:13], 0x0
	s_add_u32 s12, s50, s76
	s_addc_u32 s13, s51, s77
	s_add_u32 s25, s12, s48
	s_addc_u32 s27, s13, s49
	s_and_saveexec_b64 s[12:13], s[8:9]
	s_cbranch_execz .LBB2_6
; %bb.5:
	v_lshlrev_b64 v[7:8], 2, v[1:2]
	v_mov_b32_e32 v9, s27
	v_add_co_u32_e32 v7, vcc, s25, v7
	v_addc_co_u32_e32 v8, vcc, v9, v8, vcc
	global_load_dword v7, v[7:8], off
.LBB2_6:
	s_or_b64 exec, exec, s[12:13]
	s_waitcnt vmcnt(0) lgkmcnt(0)
	v_add_f32_e32 v8, s24, v7
	v_mul_f32_e32 v7, 0x3fb8aa3b, v8
	v_exp_f32_e32 v7, v7
	s_mov_b32 s12, 0x800000
	s_mov_b32 s13, 0x7f800000
	v_mov_b32_e32 v10, 0x41b17218
	v_add_f32_e32 v7, 1.0, v7
	v_cmp_gt_f32_e32 vcc, s12, v7
	v_cndmask_b32_e64 v9, 0, 32, vcc
	v_ldexp_f32 v7, v7, v9
	v_log_f32_e32 v7, v7
	s_mov_b32 s12, 0x3f317217
	s_mov_b32 s14, 0x41a00000
	v_cndmask_b32_e32 v10, 0, v10, vcc
	v_mul_f32_e32 v9, 0x3f317217, v7
	v_fma_f32 v9, v7, s12, -v9
	v_fmac_f32_e32 v9, 0x3377d1cf, v7
	v_fmac_f32_e32 v9, 0x3f317217, v7
	v_cmp_lt_f32_e64 s[12:13], |v7|, s13
	v_cndmask_b32_e64 v9, v7, v9, s[12:13]
	v_sub_f32_e32 v9, v9, v10
	v_cmp_lt_f32_e32 vcc, s14, v8
	v_cndmask_b32_e32 v8, v9, v8, vcc
	v_lshl_add_u32 v9, v5, 2, 0
	v_add_u32_e32 v5, 16, v9
	ds_write2st64_b32 v5, v6, v8 offset1:8
	v_or_b32_e32 v5, 1, v1
	v_mov_b32_e32 v7, 0
	v_cmp_gt_i32_e64 s[12:13], s19, v5
	v_mov_b32_e32 v5, 0
	s_and_saveexec_b64 s[14:15], s[12:13]
	s_cbranch_execz .LBB2_8
; %bb.7:
	v_lshlrev_b64 v[5:6], 2, v[1:2]
	v_mov_b32_e32 v8, s26
	v_add_co_u32_e32 v5, vcc, s18, v5
	v_addc_co_u32_e32 v6, vcc, v8, v6, vcc
	global_load_dword v5, v[5:6], off offset:4
.LBB2_8:
	s_or_b64 exec, exec, s[14:15]
	s_and_saveexec_b64 s[14:15], s[12:13]
	s_cbranch_execz .LBB2_10
; %bb.9:
	v_lshlrev_b64 v[6:7], 2, v[1:2]
	v_mov_b32_e32 v8, s27
	v_add_co_u32_e32 v6, vcc, s25, v6
	v_addc_co_u32_e32 v7, vcc, v8, v7, vcc
	global_load_dword v7, v[6:7], off offset:4
.LBB2_10:
	s_or_b64 exec, exec, s[14:15]
	s_waitcnt vmcnt(0)
	v_add_f32_e32 v6, s24, v7
	v_mul_f32_e32 v7, 0x3fb8aa3b, v6
	v_exp_f32_e32 v7, v7
	s_mov_b32 s14, 0x800000
	s_mov_b32 s15, 0x7f800000
	v_mov_b32_e32 v10, 0x41b17218
	v_add_f32_e32 v7, 1.0, v7
	v_cmp_gt_f32_e32 vcc, s14, v7
	v_cndmask_b32_e64 v8, 0, 32, vcc
	v_ldexp_f32 v7, v7, v8
	v_log_f32_e32 v7, v7
	s_mov_b32 s14, 0x3f317217
	s_mov_b32 s16, 0x41a00000
	v_cndmask_b32_e32 v10, 0, v10, vcc
	v_mul_f32_e32 v8, 0x3f317217, v7
	v_fma_f32 v8, v7, s14, -v8
	v_fmac_f32_e32 v8, 0x3377d1cf, v7
	v_fmac_f32_e32 v8, 0x3f317217, v7
	v_cmp_lt_f32_e64 s[14:15], |v7|, s15
	v_cndmask_b32_e64 v8, v7, v8, s[14:15]
	v_sub_f32_e32 v8, v8, v10
	v_cmp_lt_f32_e32 vcc, s16, v6
	v_cndmask_b32_e32 v6, v8, v6, vcc
	v_add_u32_e32 v8, 20, v9
	ds_write2st64_b32 v8, v5, v6 offset1:8
	v_or_b32_e32 v5, 2, v1
	v_mov_b32_e32 v7, 0
	v_cmp_gt_i32_e64 s[14:15], s19, v5
	v_mov_b32_e32 v6, 0
	s_and_saveexec_b64 s[16:17], s[14:15]
	s_cbranch_execz .LBB2_12
; %bb.11:
	v_lshlrev_b64 v[5:6], 2, v[1:2]
	v_mov_b32_e32 v8, s26
	v_add_co_u32_e32 v5, vcc, s18, v5
	v_addc_co_u32_e32 v6, vcc, v8, v6, vcc
	global_load_dword v6, v[5:6], off offset:8
.LBB2_12:
	s_or_b64 exec, exec, s[16:17]
	s_and_saveexec_b64 s[16:17], s[14:15]
	s_cbranch_execz .LBB2_14
; %bb.13:
	v_lshlrev_b64 v[7:8], 2, v[1:2]
	v_mov_b32_e32 v5, s27
	v_add_co_u32_e32 v7, vcc, s25, v7
	v_addc_co_u32_e32 v8, vcc, v5, v8, vcc
	global_load_dword v7, v[7:8], off offset:8
.LBB2_14:
	s_or_b64 exec, exec, s[16:17]
	s_waitcnt vmcnt(0)
	v_add_f32_e32 v7, s24, v7
	v_mul_f32_e32 v5, 0x3fb8aa3b, v7
	v_exp_f32_e32 v5, v5
	s_mov_b32 s16, 0x800000
	s_mov_b32 s17, 0x7f800000
	v_mov_b32_e32 v10, 0x41b17218
	v_add_f32_e32 v5, 1.0, v5
	v_cmp_gt_f32_e32 vcc, s16, v5
	v_cndmask_b32_e64 v8, 0, 32, vcc
	v_ldexp_f32 v5, v5, v8
	v_log_f32_e32 v5, v5
	s_mov_b32 s16, 0x3f317217
	s_mov_b32 s22, 0x41a00000
	v_cndmask_b32_e32 v10, 0, v10, vcc
	v_mul_f32_e32 v8, 0x3f317217, v5
	v_fma_f32 v8, v5, s16, -v8
	v_fmac_f32_e32 v8, 0x3377d1cf, v5
	v_fmac_f32_e32 v8, 0x3f317217, v5
	v_cmp_lt_f32_e64 s[16:17], |v5|, s17
	v_cndmask_b32_e64 v8, v5, v8, s[16:17]
	v_sub_f32_e32 v8, v8, v10
	v_cmp_lt_f32_e32 vcc, s22, v7
	v_cndmask_b32_e32 v7, v8, v7, vcc
	v_add_u32_e32 v8, 24, v9
	ds_write2st64_b32 v8, v6, v7 offset1:8
	v_or_b32_e32 v6, 3, v1
	v_mov_b32_e32 v5, 0
	v_cmp_le_i32_e32 vcc, s19, v6
	v_cmp_gt_i32_e64 s[16:17], s19, v6
	s_and_saveexec_b64 s[22:23], s[16:17]
	s_cbranch_execz .LBB2_16
; %bb.15:
	v_lshlrev_b64 v[5:6], 2, v[1:2]
	v_mov_b32_e32 v7, s26
	v_add_co_u32_e64 v5, s[18:19], s18, v5
	v_addc_co_u32_e64 v6, s[18:19], v7, v6, s[18:19]
	global_load_dword v5, v[5:6], off offset:12
.LBB2_16:
	s_or_b64 exec, exec, s[22:23]
	s_and_saveexec_b64 s[18:19], vcc
	s_xor_b64 s[18:19], exec, s[18:19]
	s_or_saveexec_b64 s[18:19], s[18:19]
	s_load_dword s33, s[4:5], 0x10
	s_load_dwordx8 s[64:71], s[4:5], 0x58
	v_mov_b32_e32 v13, 0
	v_mov_b32_e32 v6, 0
	s_xor_b64 exec, exec, s[18:19]
	s_cbranch_execz .LBB2_18
; %bb.17:
	v_lshlrev_b64 v[6:7], 2, v[1:2]
	v_mov_b32_e32 v8, s27
	v_add_co_u32_e32 v6, vcc, s25, v6
	v_addc_co_u32_e32 v7, vcc, v8, v7, vcc
	global_load_dword v6, v[6:7], off offset:12
.LBB2_18:
	s_or_b64 exec, exec, s[18:19]
	s_waitcnt vmcnt(0)
	v_add_f32_e32 v6, s24, v6
	v_mul_f32_e32 v7, 0x3fb8aa3b, v6
	v_exp_f32_e32 v7, v7
	s_mov_b32 s4, 0x800000
	s_mov_b32 s5, 0x7f800000
	s_mov_b32 s18, 0x41a00000
	v_add_f32_e32 v7, 1.0, v7
	v_cmp_gt_f32_e32 vcc, s4, v7
	v_cndmask_b32_e64 v8, 0, 32, vcc
	v_ldexp_f32 v7, v7, v8
	v_log_f32_e32 v7, v7
	s_mov_b32 s4, 0x3f317217
	s_mul_i32 s79, s80, s74
	s_mul_i32 s80, s80, s40
	v_mul_f32_e32 v8, 0x3f317217, v7
	v_fma_f32 v8, v7, s4, -v8
	v_fmac_f32_e32 v8, 0x3377d1cf, v7
	v_fmac_f32_e32 v8, 0x3f317217, v7
	v_cmp_lt_f32_e64 s[4:5], |v7|, s5
	v_cndmask_b32_e64 v7, v7, v8, s[4:5]
	v_mov_b32_e32 v8, 0x41b17218
	v_cndmask_b32_e32 v8, 0, v8, vcc
	v_sub_f32_e32 v7, v7, v8
	v_cmp_lt_f32_e32 vcc, s18, v6
	s_add_u32 s4, s58, s20
	v_cndmask_b32_e32 v6, v7, v6, vcc
	v_add_u32_e32 v7, 28, v9
	s_addc_u32 s5, s59, s21
	ds_write2st64_b32 v7, v5, v6 offset1:8
	s_waitcnt lgkmcnt(0)
	s_barrier
	s_load_dword s4, s[4:5], 0x0
	ds_read2_b32 v[5:6], v9 offset0:4 offset1:5
	ds_read2_b32 v[7:8], v9 offset0:6 offset1:7
	s_lshl_b32 s50, s42, 3
	s_cmp_lg_u32 s7, 0
	s_mul_i32 s74, s42, s41
	s_waitcnt lgkmcnt(0)
	v_mul_f32_e32 v14, s4, v5
	v_mbcnt_lo_u32_b32 v5, -1, 0
	v_mbcnt_hi_u32_b32 v5, -1, v5
	v_mul_f32_e32 v12, s4, v6
	v_and_b32_e32 v6, 15, v5
	v_cmp_ne_u32_e64 s[18:19], 0, v6
	v_cmp_lt_u32_e64 s[20:21], 1, v6
	v_cmp_lt_u32_e64 s[22:23], 3, v6
	;; [unrolled: 1-line block ×3, first 2 shown]
	v_and_b32_e32 v6, 16, v5
	v_cmp_ne_u32_e64 s[26:27], 0, v6
	v_or_b32_e32 v6, 63, v0
	v_mul_f32_e32 v11, s4, v7
	v_cmp_eq_u32_e64 s[30:31], v0, v6
	v_subrev_co_u32_e64 v6, s[38:39], 1, v5
	v_and_b32_e32 v7, 64, v5
	v_cmp_lt_i32_e32 vcc, v6, v7
	v_cndmask_b32_e32 v6, v6, v5, vcc
	v_lshlrev_b32_e32 v15, 2, v6
	v_lshrrev_b32_e32 v6, 3, v0
	v_mul_f32_e32 v10, s4, v8
	s_cselect_b64 s[4:5], -1, 0
	v_and_b32_e32 v6, 8, v6
	s_mul_i32 s6, s6, s33
	s_ashr_i32 s51, s50, 31
	s_add_i32 s74, s74, s80
	v_add_u32_e32 v16, 0, v6
	v_lshlrev_b32_e32 v6, 3, v0
	v_cmp_eq_u32_e64 s[42:43], v0, v3
	v_lshlrev_b32_e32 v3, 3, v4
	s_ashr_i32 s80, s7, 31
	s_lshl_b32 s6, s6, 3
	s_lshl_b64 s[50:51], s[50:51], 2
	v_cmp_lt_u32_e64 s[28:29], 31, v5
	v_sub_u32_e32 v6, 0, v6
	v_and_b32_e32 v5, 1, v5
	v_mov_b32_e32 v18, v3
	v_mov_b32_e32 v3, 0x1010
	s_add_u32 s50, s52, s50
	s_mov_b32 s78, 0
	v_cmp_gt_u32_e64 s[34:35], 2, v0
	v_cmp_lt_u32_e64 s[36:37], 63, v0
	v_cmp_eq_u32_e64 s[40:41], 0, v5
	v_add_u32_e32 v17, -8, v16
	v_lshl_add_u32 v19, v0, 4, v3
	s_addc_u32 s51, s53, s51
	v_add_u32_e32 v20, v9, v6
	s_mov_b32 s52, s74
	s_branch .LBB2_20
.LBB2_19:                               ;   in Loop: Header=BB2_20 Depth=1
	s_or_b64 exec, exec, s[58:59]
	s_add_i32 s78, s78, 4
	s_add_i32 s79, s79, s75
	;; [unrolled: 1-line block ×4, first 2 shown]
	s_add_u32 s50, s50, 4
	v_fmac_f32_e32 v21, v4, v27
	v_fmac_f32_e32 v28, v4, v22
	;; [unrolled: 1-line block ×4, first 2 shown]
	s_addc_u32 s51, s51, 0
	s_waitcnt lgkmcnt(1)
	v_fmac_f32_e32 v14, v7, v21
	v_fmac_f32_e32 v12, v8, v28
	s_waitcnt lgkmcnt(0)
	v_fmac_f32_e32 v11, v5, v26
	v_fmac_f32_e32 v10, v6, v25
	s_cmp_eq_u32 s78, 32
	v_add_u32_e32 v19, 0x800, v19
	s_waitcnt vmcnt(0)
	s_barrier
	s_cbranch_scc1 .LBB2_64
.LBB2_20:                               ; =>This Inner Loop Header: Depth=1
	s_and_saveexec_b64 s[58:59], s[46:47]
	s_cbranch_execz .LBB2_25
; %bb.21:                               ;   in Loop: Header=BB2_20 Depth=1
	s_and_b64 vcc, exec, s[4:5]
	s_cbranch_vccz .LBB2_63
; %bb.22:                               ;   in Loop: Header=BB2_20 Depth=1
	s_ashr_i32 s53, s6, 31
	s_add_u32 s60, s7, s6
	s_addc_u32 s61, s80, s53
	s_lshl_b64 s[60:61], s[60:61], 2
	s_add_u32 s72, s68, s60
	s_addc_u32 s73, s69, s61
	global_load_dword v3, v13, s[72:73] offset:-4
	s_add_u32 s53, s70, s60
	s_addc_u32 s61, s71, s61
	s_add_u32 s60, s53, -4
	s_addc_u32 s61, s61, -1
	s_cbranch_execnz .LBB2_24
.LBB2_23:                               ;   in Loop: Header=BB2_20 Depth=1
	s_ashr_i32 s53, s52, 31
	s_lshl_b64 s[60:61], s[52:53], 2
	s_add_u32 s60, s64, s60
	s_addc_u32 s61, s65, s61
	s_waitcnt vmcnt(0)
	v_mov_b32_e32 v3, 1.0
.LBB2_24:                               ;   in Loop: Header=BB2_20 Depth=1
	global_load_dword v4, v13, s[60:61]
	s_add_i32 s53, s78, 0
	v_mov_b32_e32 v5, s53
	v_add_u32_e32 v5, 0x9000, v5
	s_waitcnt vmcnt(0)
	ds_write2_b32 v5, v3, v4 offset0:4 offset1:12
.LBB2_25:                               ;   in Loop: Header=BB2_20 Depth=1
	s_or_b64 exec, exec, s[58:59]
	v_add_u32_e32 v7, 0, v19
	s_and_saveexec_b64 s[58:59], s[10:11]
	s_xor_b64 s[58:59], exec, s[58:59]
; %bb.26:                               ;   in Loop: Header=BB2_20 Depth=1
	ds_write_b32 v7, v13
; %bb.27:                               ;   in Loop: Header=BB2_20 Depth=1
	s_or_saveexec_b64 s[58:59], s[58:59]
	v_mov_b32_e32 v3, 0
	v_mov_b32_e32 v4, 0
	s_xor_b64 exec, exec, s[58:59]
	s_cbranch_execz .LBB2_29
; %bb.28:                               ;   in Loop: Header=BB2_20 Depth=1
	v_add_u32_e32 v4, s79, v1
	v_ashrrev_i32_e32 v5, 31, v4
	v_lshlrev_b64 v[4:5], 2, v[4:5]
	v_mov_b32_e32 v6, s55
	v_add_co_u32_e32 v21, vcc, s54, v4
	v_addc_co_u32_e32 v22, vcc, v6, v5, vcc
	v_mov_b32_e32 v8, s57
	v_add_co_u32_e32 v4, vcc, s56, v4
	v_addc_co_u32_e32 v5, vcc, v8, v5, vcc
	global_load_dword v6, v[21:22], off
	s_waitcnt vmcnt(0)
	ds_write_b32 v7, v6
	global_load_dword v4, v[4:5], off
.LBB2_29:                               ;   in Loop: Header=BB2_20 Depth=1
	s_or_b64 exec, exec, s[58:59]
	s_waitcnt vmcnt(0)
	ds_write_b32 v7, v4 offset:16384
	s_and_saveexec_b64 s[58:59], s[12:13]
	s_cbranch_execz .LBB2_31
; %bb.30:                               ;   in Loop: Header=BB2_20 Depth=1
	s_ashr_i32 s53, s79, 31
	v_mov_b32_e32 v4, s53
	v_add_co_u32_e32 v3, vcc, s79, v1
	v_addc_co_u32_e32 v4, vcc, v4, v2, vcc
	v_lshlrev_b64 v[3:4], 2, v[3:4]
	v_mov_b32_e32 v5, s55
	v_add_co_u32_e32 v3, vcc, s54, v3
	v_addc_co_u32_e32 v4, vcc, v5, v4, vcc
	global_load_dword v3, v[3:4], off offset:4
.LBB2_31:                               ;   in Loop: Header=BB2_20 Depth=1
	s_or_b64 exec, exec, s[58:59]
	s_waitcnt vmcnt(0)
	ds_write_b32 v7, v3 offset:4
	v_mov_b32_e32 v3, 0
	v_mov_b32_e32 v4, 0
	s_and_saveexec_b64 s[58:59], s[12:13]
	s_cbranch_execz .LBB2_33
; %bb.32:                               ;   in Loop: Header=BB2_20 Depth=1
	s_ashr_i32 s53, s79, 31
	v_mov_b32_e32 v5, s53
	v_add_co_u32_e32 v4, vcc, s79, v1
	v_addc_co_u32_e32 v5, vcc, v5, v2, vcc
	v_lshlrev_b64 v[4:5], 2, v[4:5]
	v_mov_b32_e32 v6, s57
	v_add_co_u32_e32 v4, vcc, s56, v4
	v_addc_co_u32_e32 v5, vcc, v6, v5, vcc
	global_load_dword v4, v[4:5], off offset:4
.LBB2_33:                               ;   in Loop: Header=BB2_20 Depth=1
	s_or_b64 exec, exec, s[58:59]
	s_waitcnt vmcnt(0)
	ds_write_b32 v7, v4 offset:16388
	s_and_saveexec_b64 s[58:59], s[14:15]
	s_cbranch_execz .LBB2_35
; %bb.34:                               ;   in Loop: Header=BB2_20 Depth=1
	s_ashr_i32 s53, s79, 31
	v_mov_b32_e32 v4, s53
	v_add_co_u32_e32 v3, vcc, s79, v1
	v_addc_co_u32_e32 v4, vcc, v4, v2, vcc
	v_lshlrev_b64 v[3:4], 2, v[3:4]
	v_mov_b32_e32 v5, s55
	v_add_co_u32_e32 v3, vcc, s54, v3
	v_addc_co_u32_e32 v4, vcc, v5, v4, vcc
	global_load_dword v3, v[3:4], off offset:8
.LBB2_35:                               ;   in Loop: Header=BB2_20 Depth=1
	s_or_b64 exec, exec, s[58:59]
	s_waitcnt vmcnt(0)
	ds_write_b32 v7, v3 offset:8
	v_mov_b32_e32 v3, 0
	v_mov_b32_e32 v4, 0
	s_and_saveexec_b64 s[58:59], s[14:15]
	s_cbranch_execz .LBB2_37
; %bb.36:                               ;   in Loop: Header=BB2_20 Depth=1
	s_ashr_i32 s53, s79, 31
	v_mov_b32_e32 v5, s53
	v_add_co_u32_e32 v4, vcc, s79, v1
	v_addc_co_u32_e32 v5, vcc, v5, v2, vcc
	v_lshlrev_b64 v[4:5], 2, v[4:5]
	v_mov_b32_e32 v6, s57
	v_add_co_u32_e32 v4, vcc, s56, v4
	v_addc_co_u32_e32 v5, vcc, v6, v5, vcc
	global_load_dword v4, v[4:5], off offset:8
.LBB2_37:                               ;   in Loop: Header=BB2_20 Depth=1
	s_or_b64 exec, exec, s[58:59]
	s_waitcnt vmcnt(0)
	ds_write_b32 v7, v4 offset:16392
	s_and_saveexec_b64 s[58:59], s[16:17]
	s_cbranch_execz .LBB2_39
; %bb.38:                               ;   in Loop: Header=BB2_20 Depth=1
	s_ashr_i32 s53, s79, 31
	v_mov_b32_e32 v4, s53
	v_add_co_u32_e32 v3, vcc, s79, v1
	v_addc_co_u32_e32 v4, vcc, v4, v2, vcc
	v_lshlrev_b64 v[3:4], 2, v[3:4]
	v_mov_b32_e32 v5, s55
	v_add_co_u32_e32 v3, vcc, s54, v3
	v_addc_co_u32_e32 v4, vcc, v5, v4, vcc
	global_load_dword v3, v[3:4], off offset:12
.LBB2_39:                               ;   in Loop: Header=BB2_20 Depth=1
	s_or_b64 exec, exec, s[58:59]
	s_waitcnt vmcnt(0)
	ds_write_b32 v7, v3 offset:12
	v_mov_b32_e32 v3, 0
	s_and_saveexec_b64 s[58:59], s[16:17]
	s_cbranch_execz .LBB2_41
; %bb.40:                               ;   in Loop: Header=BB2_20 Depth=1
	s_ashr_i32 s53, s79, 31
	v_mov_b32_e32 v4, s53
	v_add_co_u32_e32 v3, vcc, s79, v1
	v_addc_co_u32_e32 v4, vcc, v4, v2, vcc
	v_lshlrev_b64 v[3:4], 2, v[3:4]
	v_mov_b32_e32 v5, s57
	v_add_co_u32_e32 v3, vcc, s56, v3
	v_addc_co_u32_e32 v4, vcc, v5, v4, vcc
	global_load_dword v3, v[3:4], off offset:12
.LBB2_41:                               ;   in Loop: Header=BB2_20 Depth=1
	s_or_b64 exec, exec, s[58:59]
	s_waitcnt vmcnt(0)
	ds_write_b32 v7, v3 offset:16396
	s_waitcnt lgkmcnt(0)
	s_barrier
	global_load_dword v33, v13, s[50:51]
	v_add_u32_e32 v3, 0x810, v9
	v_add_u32_e32 v4, 0x818, v9
	ds_read2_b32 v[5:6], v9 offset0:4 offset1:5
	ds_read2_b32 v[22:23], v9 offset0:6 offset1:7
	ds_read2_b32 v[24:25], v7 offset1:1
	ds_read2_b32 v[26:27], v3 offset1:1
	ds_read2_b32 v[28:29], v7 offset0:2 offset1:3
	ds_read2_b32 v[31:32], v4 offset1:1
	s_add_i32 s53, s78, 0
	v_mov_b32_e32 v8, s53
	v_add_u32_e32 v3, 0x9000, v8
	s_waitcnt lgkmcnt(2)
	v_mul_f32_e32 v8, v26, v24
	v_mul_f32_e32 v24, v27, v25
	s_waitcnt lgkmcnt(0)
	v_mul_f32_e32 v25, v31, v28
	v_mul_f32_e32 v21, v5, v8
	;; [unrolled: 1-line block ×6, first 2 shown]
	ds_read2_b32 v[3:4], v3 offset0:4 offset1:12
	s_waitcnt vmcnt(0)
	v_mul_f32_e32 v5, v26, v33
	v_mul_f32_e32 v6, v27, v33
	;; [unrolled: 1-line block ×7, first 2 shown]
	v_exp_f32_e32 v27, v5
	v_exp_f32_e32 v33, v6
	v_mul_f32_e32 v5, 0x3fb8aa3b, v23
	v_exp_f32_e32 v32, v22
	v_exp_f32_e32 v31, v5
	v_mul_f32_e32 v22, v27, v33
	v_fma_f32 v28, v21, v33, v8
	v_mul_f32_e32 v23, v22, v32
	v_fma_f32 v26, v28, v32, v29
	;; [unrolled: 2-line block ×3, first 2 shown]
	v_mov_b32_e32 v34, v25
	v_mov_b32_dpp v6, v24 row_shr:1 row_mask:0xf bank_mask:0xf
	v_mov_b32_dpp v5, v25 row_shr:1 row_mask:0xf bank_mask:0xf
	v_mov_b32_e32 v35, v24
	s_and_saveexec_b64 s[58:59], s[18:19]
; %bb.42:                               ;   in Loop: Header=BB2_20 Depth=1
	v_mov_b32_e32 v34, v25
	v_mul_f32_e32 v35, v24, v6
	v_fmac_f32_e32 v34, v24, v5
; %bb.43:                               ;   in Loop: Header=BB2_20 Depth=1
	s_or_b64 exec, exec, s[58:59]
	v_mov_b32_dpp v6, v35 row_shr:2 row_mask:0xf bank_mask:0xf
	v_mov_b32_dpp v5, v34 row_shr:2 row_mask:0xf bank_mask:0xf
	s_and_saveexec_b64 s[58:59], s[20:21]
; %bb.44:                               ;   in Loop: Header=BB2_20 Depth=1
	v_mul_f32_e32 v6, v35, v6
	v_fmac_f32_e32 v34, v35, v5
	v_mov_b32_e32 v35, v6
; %bb.45:                               ;   in Loop: Header=BB2_20 Depth=1
	s_or_b64 exec, exec, s[58:59]
	s_nop 0
	v_mov_b32_dpp v6, v35 row_shr:4 row_mask:0xf bank_mask:0xf
	v_mov_b32_dpp v5, v34 row_shr:4 row_mask:0xf bank_mask:0xf
	s_and_saveexec_b64 s[58:59], s[22:23]
; %bb.46:                               ;   in Loop: Header=BB2_20 Depth=1
	v_mul_f32_e32 v6, v35, v6
	v_fmac_f32_e32 v34, v35, v5
	v_mov_b32_e32 v35, v6
; %bb.47:                               ;   in Loop: Header=BB2_20 Depth=1
	s_or_b64 exec, exec, s[58:59]
	s_nop 0
	;; [unrolled: 10-line block ×3, first 2 shown]
	v_mov_b32_dpp v6, v35 row_bcast:15 row_mask:0xf bank_mask:0xf
	v_mov_b32_dpp v5, v34 row_bcast:15 row_mask:0xf bank_mask:0xf
	s_and_saveexec_b64 s[58:59], s[26:27]
; %bb.50:                               ;   in Loop: Header=BB2_20 Depth=1
	v_mul_f32_e32 v6, v35, v6
	v_fmac_f32_e32 v34, v35, v5
	v_mov_b32_e32 v35, v6
; %bb.51:                               ;   in Loop: Header=BB2_20 Depth=1
	s_or_b64 exec, exec, s[58:59]
	s_nop 0
	v_mov_b32_dpp v5, v35 row_bcast:31 row_mask:0xf bank_mask:0xf
	v_mov_b32_dpp v6, v34 row_bcast:31 row_mask:0xf bank_mask:0xf
	s_and_saveexec_b64 s[58:59], s[28:29]
; %bb.52:                               ;   in Loop: Header=BB2_20 Depth=1
	v_fmac_f32_e32 v34, v35, v6
	v_mul_f32_e32 v35, v35, v5
; %bb.53:                               ;   in Loop: Header=BB2_20 Depth=1
	s_or_b64 exec, exec, s[58:59]
	s_and_saveexec_b64 s[58:59], s[30:31]
; %bb.54:                               ;   in Loop: Header=BB2_20 Depth=1
	ds_write2_b32 v16, v35, v34 offset1:1
; %bb.55:                               ;   in Loop: Header=BB2_20 Depth=1
	s_or_b64 exec, exec, s[58:59]
	s_waitcnt lgkmcnt(0)
	s_barrier
	s_and_saveexec_b64 s[58:59], s[34:35]
	s_cbranch_execz .LBB2_57
; %bb.56:                               ;   in Loop: Header=BB2_20 Depth=1
	ds_read2_b32 v[5:6], v20 offset1:1
	s_waitcnt lgkmcnt(0)
	s_nop 0
	v_mov_b32_dpp v36, v5 row_shr:1 row_mask:0xf bank_mask:0xf
	v_mov_b32_dpp v37, v6 row_shr:1 row_mask:0xf bank_mask:0xf
	v_fma_f32 v37, v5, v37, v6
	v_mul_f32_e32 v36, v5, v36
	v_cndmask_b32_e64 v5, v36, v5, s[40:41]
	v_cndmask_b32_e64 v6, v37, v6, s[40:41]
	ds_write2_b32 v20, v5, v6 offset1:1
.LBB2_57:                               ;   in Loop: Header=BB2_20 Depth=1
	s_or_b64 exec, exec, s[58:59]
	s_waitcnt lgkmcnt(0)
	s_barrier
                                        ; implicit-def: $vgpr6
	s_and_saveexec_b64 s[58:59], s[36:37]
	s_cbranch_execz .LBB2_59
; %bb.58:                               ;   in Loop: Header=BB2_20 Depth=1
	ds_read2_b32 v[5:6], v17 offset1:1
	s_waitcnt lgkmcnt(0)
	v_mul_f32_e32 v36, v35, v5
	v_fmac_f32_e32 v34, v35, v6
	v_mov_b32_e32 v35, v36
.LBB2_59:                               ;   in Loop: Header=BB2_20 Depth=1
	s_or_b64 exec, exec, s[58:59]
	ds_bpermute_b32 v35, v15, v35
	ds_bpermute_b32 v34, v15, v34
	s_and_saveexec_b64 s[58:59], s[44:45]
	s_cbranch_execz .LBB2_61
; %bb.60:                               ;   in Loop: Header=BB2_20 Depth=1
	s_waitcnt lgkmcnt(0)
	v_cndmask_b32_e64 v6, v34, v6, s[38:39]
	v_cndmask_b32_e64 v5, v35, v5, s[38:39]
	v_fmac_f32_e32 v21, v27, v6
	v_mul_f32_e32 v5, v27, v5
	v_fmac_f32_e32 v8, v21, v33
	v_mul_f32_e32 v22, v5, v33
	;; [unrolled: 2-line block ×4, first 2 shown]
	v_mov_b32_e32 v25, v30
	v_mov_b32_e32 v26, v29
	;; [unrolled: 1-line block ×4, first 2 shown]
	;;#ASMSTART
	;;#ASMEND
.LBB2_61:                               ;   in Loop: Header=BB2_20 Depth=1
	s_or_b64 exec, exec, s[58:59]
	v_add_u32_e32 v5, 0x4000, v7
	v_add_u32_e32 v6, 0x4008, v7
	buffer_store_dword v27, off, s[0:3], 0
	buffer_store_dword v21, off, s[0:3], 0 offset:4
	buffer_store_dword v22, off, s[0:3], 0 offset:8
	buffer_store_dword v28, off, s[0:3], 0 offset:12
	buffer_store_dword v23, off, s[0:3], 0 offset:16
	buffer_store_dword v26, off, s[0:3], 0 offset:20
	buffer_store_dword v24, off, s[0:3], 0 offset:24
	buffer_store_dword v25, off, s[0:3], 0 offset:28
	s_waitcnt vmcnt(0) lgkmcnt(0)
	s_barrier
	ds_read2_b32 v[7:8], v5 offset1:1
	ds_read2_b32 v[5:6], v6 offset1:1
	s_and_saveexec_b64 s[58:59], s[42:43]
	s_cbranch_execz .LBB2_19
; %bb.62:                               ;   in Loop: Header=BB2_20 Depth=1
	buffer_load_dword v29, v18, s[0:3], 0 offen
	buffer_load_dword v30, v18, s[0:3], 0 offen offset:4
	s_add_i32 s60, s7, s6
	s_ashr_i32 s61, s60, 31
	s_lshl_b64 s[60:61], s[60:61], 2
	s_add_u32 s72, s68, s60
	v_mov_b32_e32 v31, s53
	s_addc_u32 s73, s69, s61
	v_add_u32_e32 v31, 0x9000, v31
	s_add_u32 s60, s70, s60
	s_addc_u32 s61, s71, s61
	s_waitcnt vmcnt(1)
	v_mul_f32_e32 v3, v3, v29
	s_waitcnt vmcnt(0)
	v_fmac_f32_e32 v30, v4, v29
	global_store_dword v13, v3, s[72:73]
	global_store_dword v13, v30, s[60:61]
	ds_write2_b32 v31, v3, v30 offset0:4 offset1:12
	s_branch .LBB2_19
.LBB2_63:                               ;   in Loop: Header=BB2_20 Depth=1
                                        ; implicit-def: $sgpr60_sgpr61
                                        ; implicit-def: $vgpr3
	s_branch .LBB2_23
.LBB2_64:
	s_add_u32 s4, s62, s76
	s_addc_u32 s5, s63, s77
	s_add_u32 s11, s4, s48
	s_addc_u32 s18, s5, s49
	;; [unrolled: 2-line block ×3, first 2 shown]
	s_add_u32 s6, s4, s48
	v_lshlrev_b64 v[1:2], 2, v[1:2]
	s_addc_u32 s10, s5, s49
	s_and_saveexec_b64 s[4:5], s[8:9]
	s_cbranch_execnz .LBB2_72
; %bb.65:
	s_or_b64 exec, exec, s[4:5]
	s_and_saveexec_b64 s[4:5], s[12:13]
	s_cbranch_execnz .LBB2_73
.LBB2_66:
	s_or_b64 exec, exec, s[4:5]
	s_and_saveexec_b64 s[4:5], s[14:15]
	s_cbranch_execnz .LBB2_74
.LBB2_67:
	s_or_b64 exec, exec, s[4:5]
	s_and_saveexec_b64 s[4:5], s[16:17]
	s_cbranch_execz .LBB2_69
.LBB2_68:
	v_mov_b32_e32 v4, s18
	v_add_co_u32_e32 v3, vcc, s11, v1
	v_addc_co_u32_e32 v4, vcc, v4, v2, vcc
	global_load_dword v3, v[3:4], off offset:12
	s_waitcnt vmcnt(0)
	v_mul_f32_e32 v4, 0xbfb8aa3b, v3
	v_exp_f32_e32 v4, v4
	v_add_f32_e32 v4, 1.0, v4
	v_div_scale_f32 v5, s[8:9], v4, v4, v3
	v_div_scale_f32 v6, vcc, v3, v4, v3
	v_rcp_f32_e32 v7, v5
	v_fma_f32 v8, -v5, v7, 1.0
	v_fmac_f32_e32 v7, v8, v7
	v_mul_f32_e32 v8, v6, v7
	v_fma_f32 v9, -v5, v8, v6
	v_fmac_f32_e32 v8, v9, v7
	v_fma_f32 v5, -v5, v8, v6
	v_div_fmas_f32 v5, v5, v7, v8
	v_mov_b32_e32 v6, s10
	v_add_co_u32_e32 v1, vcc, s6, v1
	v_addc_co_u32_e32 v2, vcc, v6, v2, vcc
	v_div_fixup_f32 v3, v5, v4, v3
	v_mul_f32_e32 v3, v10, v3
	global_store_dword v[1:2], v3, off offset:12
.LBB2_69:
	s_or_b64 exec, exec, s[4:5]
	s_add_i32 s33, s33, -1
	s_cmp_eq_u32 s7, s33
	s_cselect_b64 s[4:5], -1, 0
	v_cmp_gt_u32_e32 vcc, 8, v0
	s_and_b64 s[4:5], s[4:5], vcc
	s_and_saveexec_b64 s[6:7], s[4:5]
	s_cbranch_execz .LBB2_71
; %bb.70:
	v_lshl_add_u32 v1, v0, 2, 0
	v_add_u32_e32 v0, s74, v0
	ds_read_b32 v2, v1 offset:36912
	v_ashrrev_i32_e32 v1, 31, v0
	v_lshlrev_b64 v[0:1], 2, v[0:1]
	v_mov_b32_e32 v3, s65
	v_add_co_u32_e32 v0, vcc, s64, v0
	v_addc_co_u32_e32 v1, vcc, v3, v1, vcc
	s_waitcnt lgkmcnt(0)
	global_store_dword v[0:1], v2, off
.LBB2_71:
	s_endpgm
.LBB2_72:
	v_mov_b32_e32 v4, s18
	v_add_co_u32_e32 v3, vcc, s11, v1
	v_addc_co_u32_e32 v4, vcc, v4, v2, vcc
	global_load_dword v3, v[3:4], off
	s_waitcnt vmcnt(0)
	v_mul_f32_e32 v4, 0xbfb8aa3b, v3
	v_exp_f32_e32 v4, v4
	v_add_f32_e32 v4, 1.0, v4
	v_div_scale_f32 v5, s[8:9], v4, v4, v3
	v_div_scale_f32 v6, vcc, v3, v4, v3
	v_rcp_f32_e32 v7, v5
	v_fma_f32 v8, -v5, v7, 1.0
	v_fmac_f32_e32 v7, v8, v7
	v_mul_f32_e32 v8, v6, v7
	v_fma_f32 v9, -v5, v8, v6
	v_fmac_f32_e32 v8, v9, v7
	v_fma_f32 v5, -v5, v8, v6
	v_div_fmas_f32 v5, v5, v7, v8
	v_mov_b32_e32 v6, s10
	v_div_fixup_f32 v3, v5, v4, v3
	v_mul_f32_e32 v5, v14, v3
	v_add_co_u32_e32 v3, vcc, s6, v1
	v_addc_co_u32_e32 v4, vcc, v6, v2, vcc
	global_store_dword v[3:4], v5, off
	s_or_b64 exec, exec, s[4:5]
	s_and_saveexec_b64 s[4:5], s[12:13]
	s_cbranch_execz .LBB2_66
.LBB2_73:
	v_mov_b32_e32 v4, s18
	v_add_co_u32_e32 v3, vcc, s11, v1
	v_addc_co_u32_e32 v4, vcc, v4, v2, vcc
	global_load_dword v3, v[3:4], off offset:4
	s_waitcnt vmcnt(0)
	v_mul_f32_e32 v4, 0xbfb8aa3b, v3
	v_exp_f32_e32 v4, v4
	v_add_f32_e32 v4, 1.0, v4
	v_div_scale_f32 v5, s[8:9], v4, v4, v3
	v_div_scale_f32 v6, vcc, v3, v4, v3
	v_rcp_f32_e32 v7, v5
	v_fma_f32 v8, -v5, v7, 1.0
	v_fmac_f32_e32 v7, v8, v7
	v_mul_f32_e32 v8, v6, v7
	v_fma_f32 v9, -v5, v8, v6
	v_fmac_f32_e32 v8, v9, v7
	v_fma_f32 v5, -v5, v8, v6
	v_div_fmas_f32 v5, v5, v7, v8
	v_mov_b32_e32 v6, s10
	v_div_fixup_f32 v3, v5, v4, v3
	v_mul_f32_e32 v5, v12, v3
	v_add_co_u32_e32 v3, vcc, s6, v1
	v_addc_co_u32_e32 v4, vcc, v6, v2, vcc
	global_store_dword v[3:4], v5, off offset:4
	s_or_b64 exec, exec, s[4:5]
	s_and_saveexec_b64 s[4:5], s[14:15]
	s_cbranch_execz .LBB2_67
.LBB2_74:
	v_mov_b32_e32 v4, s18
	v_add_co_u32_e32 v3, vcc, s11, v1
	v_addc_co_u32_e32 v4, vcc, v4, v2, vcc
	global_load_dword v3, v[3:4], off offset:8
	s_waitcnt vmcnt(0)
	v_mul_f32_e32 v4, 0xbfb8aa3b, v3
	v_exp_f32_e32 v4, v4
	v_add_f32_e32 v4, 1.0, v4
	v_div_scale_f32 v5, s[8:9], v4, v4, v3
	v_div_scale_f32 v6, vcc, v3, v4, v3
	v_rcp_f32_e32 v7, v5
	v_fma_f32 v8, -v5, v7, 1.0
	v_fmac_f32_e32 v7, v8, v7
	v_mul_f32_e32 v8, v6, v7
	v_fma_f32 v9, -v5, v8, v6
	v_fmac_f32_e32 v8, v9, v7
	v_fma_f32 v5, -v5, v8, v6
	v_div_fmas_f32 v5, v5, v7, v8
	v_mov_b32_e32 v6, s10
	v_div_fixup_f32 v3, v5, v4, v3
	v_mul_f32_e32 v5, v11, v3
	v_add_co_u32_e32 v3, vcc, s6, v1
	v_addc_co_u32_e32 v4, vcc, v6, v2, vcc
	global_store_dword v[3:4], v5, off offset:8
	s_or_b64 exec, exec, s[4:5]
	s_and_saveexec_b64 s[4:5], s[16:17]
	s_cbranch_execnz .LBB2_68
	s_branch .LBB2_69
	.section	.rodata,"a",@progbits
	.p2align	6, 0x0
	.amdhsa_kernel _Z26selective_scan_vllm_kernelI18SSMFwdKernelTraitsILi128ELi4ELi8ELb1ELb1ELb0EEEv13SSMParamsBase
		.amdhsa_group_segment_fixed_size 0
		.amdhsa_private_segment_fixed_size 48
		.amdhsa_kernarg_size 144
		.amdhsa_user_sgpr_count 6
		.amdhsa_user_sgpr_private_segment_buffer 1
		.amdhsa_user_sgpr_dispatch_ptr 0
		.amdhsa_user_sgpr_queue_ptr 0
		.amdhsa_user_sgpr_kernarg_segment_ptr 1
		.amdhsa_user_sgpr_dispatch_id 0
		.amdhsa_user_sgpr_flat_scratch_init 0
		.amdhsa_user_sgpr_private_segment_size 0
		.amdhsa_uses_dynamic_stack 0
		.amdhsa_system_sgpr_private_segment_wavefront_offset 1
		.amdhsa_system_sgpr_workgroup_id_x 1
		.amdhsa_system_sgpr_workgroup_id_y 1
		.amdhsa_system_sgpr_workgroup_id_z 0
		.amdhsa_system_sgpr_workgroup_info 0
		.amdhsa_system_vgpr_workitem_id 0
		.amdhsa_next_free_vgpr 38
		.amdhsa_next_free_sgpr 81
		.amdhsa_reserve_vcc 1
		.amdhsa_reserve_flat_scratch 0
		.amdhsa_float_round_mode_32 0
		.amdhsa_float_round_mode_16_64 0
		.amdhsa_float_denorm_mode_32 3
		.amdhsa_float_denorm_mode_16_64 3
		.amdhsa_dx10_clamp 1
		.amdhsa_ieee_mode 1
		.amdhsa_fp16_overflow 0
		.amdhsa_exception_fp_ieee_invalid_op 0
		.amdhsa_exception_fp_denorm_src 0
		.amdhsa_exception_fp_ieee_div_zero 0
		.amdhsa_exception_fp_ieee_overflow 0
		.amdhsa_exception_fp_ieee_underflow 0
		.amdhsa_exception_fp_ieee_inexact 0
		.amdhsa_exception_int_div_zero 0
	.end_amdhsa_kernel
	.section	.text._Z26selective_scan_vllm_kernelI18SSMFwdKernelTraitsILi128ELi4ELi8ELb1ELb1ELb0EEEv13SSMParamsBase,"axG",@progbits,_Z26selective_scan_vllm_kernelI18SSMFwdKernelTraitsILi128ELi4ELi8ELb1ELb1ELb0EEEv13SSMParamsBase,comdat
.Lfunc_end2:
	.size	_Z26selective_scan_vllm_kernelI18SSMFwdKernelTraitsILi128ELi4ELi8ELb1ELb1ELb0EEEv13SSMParamsBase, .Lfunc_end2-_Z26selective_scan_vllm_kernelI18SSMFwdKernelTraitsILi128ELi4ELi8ELb1ELb1ELb0EEEv13SSMParamsBase
                                        ; -- End function
	.set _Z26selective_scan_vllm_kernelI18SSMFwdKernelTraitsILi128ELi4ELi8ELb1ELb1ELb0EEEv13SSMParamsBase.num_vgpr, 38
	.set _Z26selective_scan_vllm_kernelI18SSMFwdKernelTraitsILi128ELi4ELi8ELb1ELb1ELb0EEEv13SSMParamsBase.num_agpr, 0
	.set _Z26selective_scan_vllm_kernelI18SSMFwdKernelTraitsILi128ELi4ELi8ELb1ELb1ELb0EEEv13SSMParamsBase.numbered_sgpr, 81
	.set _Z26selective_scan_vllm_kernelI18SSMFwdKernelTraitsILi128ELi4ELi8ELb1ELb1ELb0EEEv13SSMParamsBase.num_named_barrier, 0
	.set _Z26selective_scan_vllm_kernelI18SSMFwdKernelTraitsILi128ELi4ELi8ELb1ELb1ELb0EEEv13SSMParamsBase.private_seg_size, 48
	.set _Z26selective_scan_vllm_kernelI18SSMFwdKernelTraitsILi128ELi4ELi8ELb1ELb1ELb0EEEv13SSMParamsBase.uses_vcc, 1
	.set _Z26selective_scan_vllm_kernelI18SSMFwdKernelTraitsILi128ELi4ELi8ELb1ELb1ELb0EEEv13SSMParamsBase.uses_flat_scratch, 0
	.set _Z26selective_scan_vllm_kernelI18SSMFwdKernelTraitsILi128ELi4ELi8ELb1ELb1ELb0EEEv13SSMParamsBase.has_dyn_sized_stack, 0
	.set _Z26selective_scan_vllm_kernelI18SSMFwdKernelTraitsILi128ELi4ELi8ELb1ELb1ELb0EEEv13SSMParamsBase.has_recursion, 0
	.set _Z26selective_scan_vllm_kernelI18SSMFwdKernelTraitsILi128ELi4ELi8ELb1ELb1ELb0EEEv13SSMParamsBase.has_indirect_call, 0
	.section	.AMDGPU.csdata,"",@progbits
; Kernel info:
; codeLenInByte = 4284
; TotalNumSgprs: 85
; NumVgprs: 38
; ScratchSize: 48
; MemoryBound: 0
; FloatMode: 240
; IeeeMode: 1
; LDSByteSize: 0 bytes/workgroup (compile time only)
; SGPRBlocks: 10
; VGPRBlocks: 9
; NumSGPRsForWavesPerEU: 85
; NumVGPRsForWavesPerEU: 38
; Occupancy: 6
; WaveLimiterHint : 0
; COMPUTE_PGM_RSRC2:SCRATCH_EN: 1
; COMPUTE_PGM_RSRC2:USER_SGPR: 6
; COMPUTE_PGM_RSRC2:TRAP_HANDLER: 0
; COMPUTE_PGM_RSRC2:TGID_X_EN: 1
; COMPUTE_PGM_RSRC2:TGID_Y_EN: 1
; COMPUTE_PGM_RSRC2:TGID_Z_EN: 0
; COMPUTE_PGM_RSRC2:TIDIG_COMP_CNT: 0
	.section	.text._Z26selective_scan_vllm_kernelI18SSMFwdKernelTraitsILi128ELi4ELi8ELb1ELb0ELb1EEEv13SSMParamsBase,"axG",@progbits,_Z26selective_scan_vllm_kernelI18SSMFwdKernelTraitsILi128ELi4ELi8ELb1ELb0ELb1EEEv13SSMParamsBase,comdat
	.protected	_Z26selective_scan_vllm_kernelI18SSMFwdKernelTraitsILi128ELi4ELi8ELb1ELb0ELb1EEEv13SSMParamsBase ; -- Begin function _Z26selective_scan_vllm_kernelI18SSMFwdKernelTraitsILi128ELi4ELi8ELb1ELb0ELb1EEEv13SSMParamsBase
	.globl	_Z26selective_scan_vllm_kernelI18SSMFwdKernelTraitsILi128ELi4ELi8ELb1ELb0ELb1EEEv13SSMParamsBase
	.p2align	8
	.type	_Z26selective_scan_vllm_kernelI18SSMFwdKernelTraitsILi128ELi4ELi8ELb1ELb0ELb1EEEv13SSMParamsBase,@function
_Z26selective_scan_vllm_kernelI18SSMFwdKernelTraitsILi128ELi4ELi8ELb1ELb0ELb1EEEv13SSMParamsBase: ; @_Z26selective_scan_vllm_kernelI18SSMFwdKernelTraitsILi128ELi4ELi8ELb1ELb0ELb1EEEv13SSMParamsBase
; %bb.0:
	s_load_dword s10, s[4:5], 0x4
	s_load_dword s33, s[4:5], 0x10
	s_add_u32 s0, s0, s8
	s_addc_u32 s1, s1, 0
	s_load_dwordx16 s[36:51], s[4:5], 0x18
	s_load_dwordx8 s[52:59], s[4:5], 0x58
	s_waitcnt lgkmcnt(0)
	s_abs_i32 s11, s10
	v_cvt_f32_u32_e32 v1, s11
	s_load_dwordx2 s[28:29], s[4:5], 0x88
	s_load_dwordx4 s[60:63], s[4:5], 0x78
	s_sub_i32 s4, 0, s11
	s_abs_i32 s13, s6
	v_rcp_iflag_f32_e32 v1, v1
	s_mov_b32 s68, 0
	s_ashr_i32 s12, s6, 31
	s_ashr_i32 s14, s10, 31
	v_mul_f32_e32 v1, 0x4f7ffffe, v1
	v_cvt_u32_f32_e32 v1, v1
	v_cmp_eq_u32_e64 s[34:35], 0, v0
	v_readfirstlane_b32 s5, v1
	s_mul_i32 s4, s4, s5
	s_mul_hi_u32 s4, s5, s4
	s_add_i32 s5, s5, s4
	s_mul_hi_u32 s15, s13, s5
	v_cmp_ne_u32_e64 s[4:5], 0, v0
	s_and_saveexec_b64 s[8:9], s[34:35]
; %bb.1:
	v_mov_b32_e32 v1, 0x7f
	v_mov_b32_e32 v2, 3
	v_mov_b32_e32 v3, 0
	ds_write_b64 v3, v[1:2] offset:36944
; %bb.2:
	s_or_b64 exec, exec, s[8:9]
	s_mul_i32 s9, s15, s11
	s_sub_i32 s9, s13, s9
	s_xor_b32 s8, s12, s14
	s_add_i32 s12, s15, 1
	s_sub_i32 s13, s9, s11
	s_cmp_ge_u32 s9, s11
	s_cselect_b32 s12, s12, s15
	s_cselect_b32 s9, s13, s9
	s_add_i32 s13, s12, 1
	s_cmp_ge_u32 s9, s11
	s_cselect_b32 s9, s13, s12
	s_xor_b32 s9, s9, s8
	s_sub_i32 s31, s9, s8
	s_mul_i32 s8, s31, s10
	s_sub_i32 s30, s6, s8
	s_waitcnt lgkmcnt(0)
	s_mul_i32 s8, s31, s60
	s_ashr_i32 s9, s8, 31
	s_lshl_b32 s66, s7, 9
	s_lshl_b64 s[64:65], s[8:9], 2
	s_add_u32 s10, s36, s64
	s_mul_i32 s8, s30, s61
	v_lshlrev_b32_e32 v23, 2, v0
	s_addc_u32 s11, s37, s65
	s_ashr_i32 s9, s8, 31
	v_or_b32_e32 v1, s66, v23
	s_lshl_b64 s[36:37], s[8:9], 2
	v_ashrrev_i32_e32 v2, 31, v1
	s_add_u32 s8, s10, s36
	v_lshlrev_b64 v[1:2], 2, v[1:2]
	s_addc_u32 s9, s11, s37
	v_add_co_u32_e32 v3, vcc, s8, v1
	s_add_u32 s8, s38, s64
	v_mov_b32_e32 v4, s9
	s_addc_u32 s9, s39, s65
	s_add_u32 s8, s8, s36
	v_addc_co_u32_e32 v4, vcc, v4, v2, vcc
	s_addc_u32 s9, s9, s37
	v_mov_b32_e32 v8, s9
	v_add_co_u32_e32 v7, vcc, s8, v1
	v_addc_co_u32_e32 v8, vcc, v8, v2, vcc
	s_barrier
	global_load_dwordx4 v[3:6], v[3:4], off
	s_mul_i32 s60, s31, s62
	global_load_dwordx4 v[7:10], v[7:8], off
	s_mul_i32 s61, s31, s28
	s_ashr_i32 s31, s30, 31
	s_mul_i32 s62, s30, s29
	s_lshl_b64 s[28:29], s[30:31], 2
	s_add_u32 s38, s48, s28
	s_addc_u32 s39, s49, s29
	s_load_dword s31, s[38:39], 0x0
	v_mov_b32_e32 v11, 0
	v_lshl_add_u32 v12, v0, 4, 0
	s_add_u32 s28, s46, s28
	ds_read_b64 v[21:22], v11 offset:36944
	v_add_u32_e32 v15, 0x810, v12
	s_addc_u32 s29, s47, s29
	v_add_u32_e32 v16, 0x818, v12
	v_mbcnt_lo_u32_b32 v13, -1, 0
	v_mbcnt_hi_u32_b32 v20, -1, v13
	s_lshl_b32 s46, s30, 3
	v_lshrrev_b32_e32 v17, 3, v0
	v_subrev_co_u32_e64 v19, s[16:17], 1, v20
	v_and_b32_e32 v25, 64, v20
	s_cmp_lg_u32 s7, 0
	v_or_b32_e32 v14, 63, v0
	v_lshlrev_b32_e32 v18, 3, v0
	v_and_b32_e32 v13, 8, v17
	v_and_b32_e32 v17, 16, v20
	v_cmp_lt_i32_e32 vcc, v19, v25
	s_cselect_b64 s[38:39], -1, 0
	s_mul_i32 s6, s6, s33
	s_ashr_i32 s47, s46, 31
	v_cmp_eq_u32_e64 s[12:13], v0, v14
	v_sub_u32_e32 v24, 0, v18
	v_and_b32_e32 v14, 15, v20
	v_add_u32_e32 v18, 0, v13
	v_cmp_ne_u32_e64 s[26:27], 0, v17
	v_cndmask_b32_e32 v13, v19, v20, vcc
	s_add_i32 s62, s62, s61
	s_ashr_i32 s69, s7, 31
	s_add_i32 s60, s60, s66
	s_lshl_b32 s6, s6, 3
	s_lshl_b64 s[46:47], s[46:47], 2
	v_cmp_ne_u32_e64 s[18:19], 0, v14
	v_cmp_lt_u32_e64 s[20:21], 1, v14
	v_cmp_lt_u32_e64 s[22:23], 3, v14
	;; [unrolled: 1-line block ×3, first 2 shown]
	v_lshlrev_b32_e32 v19, 2, v13
	s_add_u32 s40, s40, s46
	v_cmp_gt_u32_e64 s[8:9], 2, v0
	v_cmp_lt_u32_e64 s[10:11], 63, v0
	v_cmp_lt_u32_e64 s[14:15], 31, v20
	s_addc_u32 s41, s41, s47
	s_waitcnt vmcnt(1)
	ds_write2_b32 v12, v3, v4 offset0:4 offset1:5
	ds_write2_b32 v12, v5, v6 offset0:6 offset1:7
	s_mov_b32 s46, s62
	s_waitcnt vmcnt(0) lgkmcnt(0)
	v_add_f32_e32 v3, s31, v7
	v_add_f32_e32 v4, s31, v8
	;; [unrolled: 1-line block ×4, first 2 shown]
	ds_write2_b32 v15, v3, v4 offset1:1
	ds_write2_b32 v16, v5, v6 offset1:1
	s_waitcnt lgkmcnt(0)
	s_barrier
	s_load_dword s28, s[28:29], 0x0
	ds_read2_b32 v[3:4], v12 offset0:4 offset1:5
	ds_read2_b32 v[5:6], v12 offset0:6 offset1:7
	v_cmp_eq_u32_e64 s[30:31], v0, v21
	s_mov_b32 s70, 0
	s_waitcnt lgkmcnt(0)
	v_mul_f32_e32 v17, s28, v3
	v_and_b32_e32 v3, 1, v20
	v_mul_f32_e32 v14, s28, v4
	v_mul_f32_e32 v13, s28, v5
	v_mul_f32_e32 v10, s28, v6
	v_cmp_eq_u32_e64 s[28:29], 0, v3
	v_lshlrev_b32_e32 v3, 3, v22
	v_add_u32_e32 v20, -8, v18
	v_mov_b32_e32 v21, v3
	v_add_u32_e32 v22, 0x1010, v12
	v_add_u32_e32 v3, s60, v23
	;; [unrolled: 1-line block ×3, first 2 shown]
	s_branch .LBB3_4
.LBB3_3:                                ;   in Loop: Header=BB3_4 Depth=1
	s_or_b64 exec, exec, s[48:49]
	s_addk_i32 s70, 0x800
	s_add_i32 s68, s68, 4
	s_add_i32 s46, s46, 1
	;; [unrolled: 1-line block ×3, first 2 shown]
	s_add_u32 s40, s40, 4
	v_fmac_f32_e32 v25, v5, v31
	v_fmac_f32_e32 v32, v5, v26
	;; [unrolled: 1-line block ×4, first 2 shown]
	s_addc_u32 s41, s41, 0
	s_waitcnt lgkmcnt(1)
	v_fmac_f32_e32 v17, v8, v25
	v_fmac_f32_e32 v14, v9, v32
	s_waitcnt lgkmcnt(0)
	v_fmac_f32_e32 v13, v6, v30
	v_fmac_f32_e32 v10, v7, v29
	s_cmpk_eq_i32 s70, 0x4000
	v_add_u32_e32 v3, s63, v3
	s_waitcnt vmcnt(0)
	s_barrier
	s_cbranch_scc1 .LBB3_32
.LBB3_4:                                ; =>This Inner Loop Header: Depth=1
	s_and_saveexec_b64 s[48:49], s[34:35]
	s_cbranch_execz .LBB3_9
; %bb.5:                                ;   in Loop: Header=BB3_4 Depth=1
	s_and_b64 vcc, exec, s[38:39]
	s_cbranch_vccz .LBB3_31
; %bb.6:                                ;   in Loop: Header=BB3_4 Depth=1
	s_ashr_i32 s47, s6, 31
	s_add_u32 s60, s7, s6
	s_addc_u32 s61, s69, s47
	s_lshl_b64 s[60:61], s[60:61], 2
	s_add_u32 s66, s56, s60
	s_addc_u32 s67, s57, s61
	global_load_dword v4, v11, s[66:67] offset:-4
	s_add_u32 s47, s58, s60
	s_addc_u32 s61, s59, s61
	s_add_u32 s60, s47, -4
	s_addc_u32 s61, s61, -1
	s_cbranch_execnz .LBB3_8
.LBB3_7:                                ;   in Loop: Header=BB3_4 Depth=1
	s_ashr_i32 s47, s46, 31
	s_lshl_b64 s[60:61], s[46:47], 2
	s_add_u32 s60, s52, s60
	s_addc_u32 s61, s53, s61
	s_waitcnt vmcnt(0)
	v_mov_b32_e32 v4, 1.0
.LBB3_8:                                ;   in Loop: Header=BB3_4 Depth=1
	global_load_dword v5, v11, s[60:61]
	v_mov_b32_e32 v6, s68
	v_add_u32_e32 v6, 0x9000, v6
	s_waitcnt vmcnt(0)
	ds_write2_b32 v6, v4, v5 offset0:4 offset1:12
.LBB3_9:                                ;   in Loop: Header=BB3_4 Depth=1
	s_or_b64 exec, exec, s[48:49]
	v_ashrrev_i32_e32 v4, 31, v3
	v_lshlrev_b64 v[8:9], 2, v[3:4]
	v_mov_b32_e32 v5, s43
	v_add_co_u32_e32 v4, vcc, s42, v8
	v_addc_co_u32_e32 v5, vcc, v5, v9, vcc
	v_mov_b32_e32 v24, s45
	v_add_co_u32_e32 v8, vcc, s44, v8
	global_load_dwordx4 v[4:7], v[4:5], off
	v_addc_co_u32_e32 v9, vcc, v24, v9, vcc
	global_load_dwordx4 v[25:28], v[8:9], off
	v_add_u32_e32 v9, s70, v22
	v_add_u32_e32 v8, 0x4000, v9
	;; [unrolled: 1-line block ×3, first 2 shown]
	s_waitcnt vmcnt(1)
	ds_write2_b32 v9, v4, v5 offset1:1
	s_waitcnt vmcnt(0)
	ds_write2_b32 v8, v25, v26 offset1:1
	ds_write2_b32 v9, v6, v7 offset0:2 offset1:3
	ds_write2_b32 v24, v27, v28 offset1:1
	s_waitcnt lgkmcnt(0)
	s_barrier
	global_load_dword v35, v11, s[40:41]
	v_mov_b32_e32 v4, s68
	v_add_u32_e32 v4, 0x9000, v4
	ds_read2_b32 v[6:7], v15 offset1:1
	ds_read2_b32 v[25:26], v9 offset1:1
	ds_read2_b32 v[27:28], v9 offset0:2 offset1:3
	ds_read2_b32 v[29:30], v16 offset1:1
	ds_read2_b32 v[31:32], v12 offset0:4 offset1:5
	ds_read2_b32 v[33:34], v12 offset0:6 offset1:7
	;; [unrolled: 1-line block ×3, first 2 shown]
	s_waitcnt lgkmcnt(5)
	v_mul_f32_e32 v9, v6, v25
	v_mul_f32_e32 v26, v7, v26
	s_waitcnt lgkmcnt(3)
	v_mul_f32_e32 v27, v29, v27
	s_waitcnt lgkmcnt(2)
	v_mul_f32_e32 v25, v31, v9
	v_mul_f32_e32 v9, v32, v26
	s_waitcnt lgkmcnt(1)
	v_mul_f32_e32 v33, v33, v27
	v_mul_f32_e32 v28, v30, v28
	;; [unrolled: 1-line block ×3, first 2 shown]
	s_waitcnt vmcnt(0)
	v_mul_f32_e32 v6, v6, v35
	v_mul_f32_e32 v7, v7, v35
	;; [unrolled: 1-line block ×7, first 2 shown]
	v_exp_f32_e32 v31, v6
	v_exp_f32_e32 v37, v7
	v_mul_f32_e32 v6, 0x3fb8aa3b, v27
	v_exp_f32_e32 v36, v26
	v_exp_f32_e32 v35, v6
	v_mul_f32_e32 v26, v31, v37
	v_fma_f32 v32, v25, v37, v9
	v_mul_f32_e32 v27, v26, v36
	v_fma_f32 v30, v32, v36, v33
	;; [unrolled: 2-line block ×3, first 2 shown]
	v_mov_b32_e32 v38, v29
	v_mov_b32_dpp v7, v28 row_shr:1 row_mask:0xf bank_mask:0xf
	v_mov_b32_dpp v6, v29 row_shr:1 row_mask:0xf bank_mask:0xf
	v_mov_b32_e32 v39, v28
	s_and_saveexec_b64 s[48:49], s[18:19]
; %bb.10:                               ;   in Loop: Header=BB3_4 Depth=1
	v_mov_b32_e32 v38, v29
	v_mul_f32_e32 v39, v28, v7
	v_fmac_f32_e32 v38, v28, v6
; %bb.11:                               ;   in Loop: Header=BB3_4 Depth=1
	s_or_b64 exec, exec, s[48:49]
	v_mov_b32_dpp v7, v39 row_shr:2 row_mask:0xf bank_mask:0xf
	v_mov_b32_dpp v6, v38 row_shr:2 row_mask:0xf bank_mask:0xf
	s_and_saveexec_b64 s[48:49], s[20:21]
; %bb.12:                               ;   in Loop: Header=BB3_4 Depth=1
	v_mul_f32_e32 v7, v39, v7
	v_fmac_f32_e32 v38, v39, v6
	v_mov_b32_e32 v39, v7
; %bb.13:                               ;   in Loop: Header=BB3_4 Depth=1
	s_or_b64 exec, exec, s[48:49]
	s_nop 0
	v_mov_b32_dpp v7, v39 row_shr:4 row_mask:0xf bank_mask:0xf
	v_mov_b32_dpp v6, v38 row_shr:4 row_mask:0xf bank_mask:0xf
	s_and_saveexec_b64 s[48:49], s[22:23]
; %bb.14:                               ;   in Loop: Header=BB3_4 Depth=1
	v_mul_f32_e32 v7, v39, v7
	v_fmac_f32_e32 v38, v39, v6
	v_mov_b32_e32 v39, v7
; %bb.15:                               ;   in Loop: Header=BB3_4 Depth=1
	s_or_b64 exec, exec, s[48:49]
	s_nop 0
	v_mov_b32_dpp v7, v39 row_shr:8 row_mask:0xf bank_mask:0xf
	v_mov_b32_dpp v6, v38 row_shr:8 row_mask:0xf bank_mask:0xf
	s_and_saveexec_b64 s[48:49], s[24:25]
; %bb.16:                               ;   in Loop: Header=BB3_4 Depth=1
	v_mul_f32_e32 v7, v39, v7
	v_fmac_f32_e32 v38, v39, v6
	v_mov_b32_e32 v39, v7
; %bb.17:                               ;   in Loop: Header=BB3_4 Depth=1
	s_or_b64 exec, exec, s[48:49]
	s_nop 0
	v_mov_b32_dpp v7, v39 row_bcast:15 row_mask:0xf bank_mask:0xf
	v_mov_b32_dpp v6, v38 row_bcast:15 row_mask:0xf bank_mask:0xf
	s_and_saveexec_b64 s[48:49], s[26:27]
; %bb.18:                               ;   in Loop: Header=BB3_4 Depth=1
	v_mul_f32_e32 v7, v39, v7
	v_fmac_f32_e32 v38, v39, v6
	v_mov_b32_e32 v39, v7
; %bb.19:                               ;   in Loop: Header=BB3_4 Depth=1
	s_or_b64 exec, exec, s[48:49]
	s_nop 0
	v_mov_b32_dpp v6, v39 row_bcast:31 row_mask:0xf bank_mask:0xf
	v_mov_b32_dpp v7, v38 row_bcast:31 row_mask:0xf bank_mask:0xf
	s_and_saveexec_b64 s[48:49], s[14:15]
; %bb.20:                               ;   in Loop: Header=BB3_4 Depth=1
	v_fmac_f32_e32 v38, v39, v7
	v_mul_f32_e32 v39, v39, v6
; %bb.21:                               ;   in Loop: Header=BB3_4 Depth=1
	s_or_b64 exec, exec, s[48:49]
	s_and_saveexec_b64 s[48:49], s[12:13]
; %bb.22:                               ;   in Loop: Header=BB3_4 Depth=1
	ds_write2_b32 v18, v39, v38 offset1:1
; %bb.23:                               ;   in Loop: Header=BB3_4 Depth=1
	s_or_b64 exec, exec, s[48:49]
	s_waitcnt lgkmcnt(0)
	s_barrier
	s_and_saveexec_b64 s[48:49], s[8:9]
	s_cbranch_execz .LBB3_25
; %bb.24:                               ;   in Loop: Header=BB3_4 Depth=1
	ds_read2_b32 v[6:7], v23 offset1:1
	s_waitcnt lgkmcnt(0)
	s_nop 0
	v_mov_b32_dpp v40, v6 row_shr:1 row_mask:0xf bank_mask:0xf
	v_mov_b32_dpp v41, v7 row_shr:1 row_mask:0xf bank_mask:0xf
	v_fma_f32 v41, v6, v41, v7
	v_mul_f32_e32 v40, v6, v40
	v_cndmask_b32_e64 v6, v40, v6, s[28:29]
	v_cndmask_b32_e64 v7, v41, v7, s[28:29]
	ds_write2_b32 v23, v6, v7 offset1:1
.LBB3_25:                               ;   in Loop: Header=BB3_4 Depth=1
	s_or_b64 exec, exec, s[48:49]
	s_waitcnt lgkmcnt(0)
	s_barrier
                                        ; implicit-def: $vgpr7
	s_and_saveexec_b64 s[48:49], s[10:11]
	s_cbranch_execz .LBB3_27
; %bb.26:                               ;   in Loop: Header=BB3_4 Depth=1
	ds_read2_b32 v[6:7], v20 offset1:1
	s_waitcnt lgkmcnt(0)
	v_mul_f32_e32 v40, v39, v6
	v_fmac_f32_e32 v38, v39, v7
	v_mov_b32_e32 v39, v40
.LBB3_27:                               ;   in Loop: Header=BB3_4 Depth=1
	s_or_b64 exec, exec, s[48:49]
	ds_bpermute_b32 v39, v19, v39
	ds_bpermute_b32 v38, v19, v38
	s_and_saveexec_b64 s[48:49], s[4:5]
	s_cbranch_execz .LBB3_29
; %bb.28:                               ;   in Loop: Header=BB3_4 Depth=1
	s_waitcnt lgkmcnt(0)
	v_cndmask_b32_e64 v7, v38, v7, s[16:17]
	v_cndmask_b32_e64 v6, v39, v6, s[16:17]
	v_fmac_f32_e32 v25, v31, v7
	v_mul_f32_e32 v6, v31, v6
	v_fmac_f32_e32 v9, v25, v37
	v_mul_f32_e32 v26, v6, v37
	;; [unrolled: 2-line block ×4, first 2 shown]
	v_mov_b32_e32 v29, v34
	v_mov_b32_e32 v30, v33
	;; [unrolled: 1-line block ×4, first 2 shown]
	;;#ASMSTART
	;;#ASMEND
.LBB3_29:                               ;   in Loop: Header=BB3_4 Depth=1
	s_or_b64 exec, exec, s[48:49]
	buffer_store_dword v31, off, s[0:3], 0
	buffer_store_dword v25, off, s[0:3], 0 offset:4
	buffer_store_dword v26, off, s[0:3], 0 offset:8
	;; [unrolled: 1-line block ×7, first 2 shown]
	s_waitcnt vmcnt(0) lgkmcnt(0)
	s_barrier
	ds_read2_b32 v[8:9], v8 offset1:1
	ds_read2_b32 v[6:7], v24 offset1:1
	s_and_saveexec_b64 s[48:49], s[30:31]
	s_cbranch_execz .LBB3_3
; %bb.30:                               ;   in Loop: Header=BB3_4 Depth=1
	buffer_load_dword v24, v21, s[0:3], 0 offen
	buffer_load_dword v33, v21, s[0:3], 0 offen offset:4
	s_add_i32 s60, s7, s6
	s_ashr_i32 s61, s60, 31
	s_lshl_b64 s[60:61], s[60:61], 2
	s_add_u32 s66, s56, s60
	v_mov_b32_e32 v34, s68
	s_addc_u32 s67, s57, s61
	v_add_u32_e32 v34, 0x9000, v34
	s_add_u32 s60, s58, s60
	s_addc_u32 s61, s59, s61
	s_waitcnt vmcnt(1)
	v_mul_f32_e32 v4, v4, v24
	s_waitcnt vmcnt(0)
	v_fmac_f32_e32 v33, v5, v24
	global_store_dword v11, v4, s[66:67]
	global_store_dword v11, v33, s[60:61]
	ds_write2_b32 v34, v4, v33 offset0:4 offset1:12
	s_branch .LBB3_3
.LBB3_31:                               ;   in Loop: Header=BB3_4 Depth=1
                                        ; implicit-def: $sgpr60_sgpr61
                                        ; implicit-def: $vgpr4
	s_branch .LBB3_7
.LBB3_32:
	s_add_u32 s4, s50, s64
	s_addc_u32 s5, s51, s65
	s_add_u32 s4, s4, s36
	s_addc_u32 s5, s5, s37
	v_mov_b32_e32 v4, s5
	v_add_co_u32_e32 v3, vcc, s4, v1
	v_addc_co_u32_e32 v4, vcc, v4, v2, vcc
	global_load_dword v5, v[3:4], off
	s_waitcnt vmcnt(0)
	v_mul_f32_e32 v6, 0xbfb8aa3b, v5
	v_exp_f32_e32 v6, v6
	v_add_f32_e32 v6, 1.0, v6
	v_div_scale_f32 v7, s[4:5], v6, v6, v5
	v_div_scale_f32 v8, vcc, v5, v6, v5
	s_add_u32 s4, s54, s64
	s_addc_u32 s5, s55, s65
	s_add_u32 s4, s4, s36
	s_addc_u32 s5, s5, s37
	s_add_i32 s33, s33, -1
	s_cmp_eq_u32 s7, s33
	v_rcp_f32_e32 v9, v7
	v_fma_f32 v11, -v7, v9, 1.0
	v_fmac_f32_e32 v9, v11, v9
	v_mul_f32_e32 v11, v8, v9
	v_fma_f32 v12, -v7, v11, v8
	v_fmac_f32_e32 v11, v12, v9
	v_fma_f32 v7, -v7, v11, v8
	v_div_fmas_f32 v7, v7, v9, v11
	v_mov_b32_e32 v8, s5
	v_add_co_u32_e32 v1, vcc, s4, v1
	v_addc_co_u32_e32 v2, vcc, v8, v2, vcc
	v_div_fixup_f32 v5, v7, v6, v5
	v_mul_f32_e32 v5, v17, v5
	global_store_dword v[1:2], v5, off
	global_load_dword v5, v[3:4], off offset:4
	s_waitcnt vmcnt(0)
	v_mul_f32_e32 v6, 0xbfb8aa3b, v5
	v_exp_f32_e32 v6, v6
	v_add_f32_e32 v6, 1.0, v6
	v_div_scale_f32 v7, s[4:5], v6, v6, v5
	v_div_scale_f32 v8, vcc, v5, v6, v5
	v_rcp_f32_e32 v9, v7
	v_fma_f32 v11, -v7, v9, 1.0
	v_fmac_f32_e32 v9, v11, v9
	v_mul_f32_e32 v11, v8, v9
	v_fma_f32 v12, -v7, v11, v8
	v_fmac_f32_e32 v11, v12, v9
	v_fma_f32 v7, -v7, v11, v8
	v_div_fmas_f32 v7, v7, v9, v11
	v_div_fixup_f32 v5, v7, v6, v5
	v_mul_f32_e32 v5, v14, v5
	global_store_dword v[1:2], v5, off offset:4
	global_load_dword v5, v[3:4], off offset:8
	s_waitcnt vmcnt(0)
	v_mul_f32_e32 v6, 0xbfb8aa3b, v5
	v_exp_f32_e32 v6, v6
	v_add_f32_e32 v6, 1.0, v6
	v_div_scale_f32 v7, s[4:5], v6, v6, v5
	v_div_scale_f32 v8, vcc, v5, v6, v5
	v_rcp_f32_e32 v9, v7
	v_fma_f32 v11, -v7, v9, 1.0
	v_fmac_f32_e32 v9, v11, v9
	v_mul_f32_e32 v11, v8, v9
	v_fma_f32 v12, -v7, v11, v8
	v_fmac_f32_e32 v11, v12, v9
	v_fma_f32 v7, -v7, v11, v8
	v_div_fmas_f32 v7, v7, v9, v11
	v_div_fixup_f32 v5, v7, v6, v5
	v_mul_f32_e32 v5, v13, v5
	global_store_dword v[1:2], v5, off offset:8
	global_load_dword v3, v[3:4], off offset:12
	s_waitcnt vmcnt(0)
	v_mul_f32_e32 v4, 0xbfb8aa3b, v3
	v_exp_f32_e32 v4, v4
	v_add_f32_e32 v4, 1.0, v4
	v_div_scale_f32 v5, s[4:5], v4, v4, v3
	v_div_scale_f32 v6, vcc, v3, v4, v3
	s_cselect_b64 s[4:5], -1, 0
	v_rcp_f32_e32 v7, v5
	v_fma_f32 v8, -v5, v7, 1.0
	v_fmac_f32_e32 v7, v8, v7
	v_mul_f32_e32 v8, v6, v7
	v_fma_f32 v9, -v5, v8, v6
	v_fmac_f32_e32 v8, v9, v7
	v_fma_f32 v5, -v5, v8, v6
	v_div_fmas_f32 v5, v5, v7, v8
	v_cmp_gt_u32_e32 vcc, 8, v0
	s_and_b64 s[4:5], s[4:5], vcc
	v_div_fixup_f32 v3, v5, v4, v3
	v_mul_f32_e32 v3, v10, v3
	global_store_dword v[1:2], v3, off offset:12
	s_and_saveexec_b64 s[6:7], s[4:5]
	s_cbranch_execz .LBB3_34
; %bb.33:
	v_lshl_add_u32 v1, v0, 2, 0
	v_add_u32_e32 v0, s62, v0
	ds_read_b32 v2, v1 offset:36912
	v_ashrrev_i32_e32 v1, 31, v0
	v_lshlrev_b64 v[0:1], 2, v[0:1]
	v_mov_b32_e32 v3, s53
	v_add_co_u32_e32 v0, vcc, s52, v0
	v_addc_co_u32_e32 v1, vcc, v3, v1, vcc
	s_waitcnt lgkmcnt(0)
	global_store_dword v[0:1], v2, off
.LBB3_34:
	s_endpgm
	.section	.rodata,"a",@progbits
	.p2align	6, 0x0
	.amdhsa_kernel _Z26selective_scan_vllm_kernelI18SSMFwdKernelTraitsILi128ELi4ELi8ELb1ELb0ELb1EEEv13SSMParamsBase
		.amdhsa_group_segment_fixed_size 0
		.amdhsa_private_segment_fixed_size 48
		.amdhsa_kernarg_size 144
		.amdhsa_user_sgpr_count 6
		.amdhsa_user_sgpr_private_segment_buffer 1
		.amdhsa_user_sgpr_dispatch_ptr 0
		.amdhsa_user_sgpr_queue_ptr 0
		.amdhsa_user_sgpr_kernarg_segment_ptr 1
		.amdhsa_user_sgpr_dispatch_id 0
		.amdhsa_user_sgpr_flat_scratch_init 0
		.amdhsa_user_sgpr_private_segment_size 0
		.amdhsa_uses_dynamic_stack 0
		.amdhsa_system_sgpr_private_segment_wavefront_offset 1
		.amdhsa_system_sgpr_workgroup_id_x 1
		.amdhsa_system_sgpr_workgroup_id_y 1
		.amdhsa_system_sgpr_workgroup_id_z 0
		.amdhsa_system_sgpr_workgroup_info 0
		.amdhsa_system_vgpr_workitem_id 0
		.amdhsa_next_free_vgpr 42
		.amdhsa_next_free_sgpr 71
		.amdhsa_reserve_vcc 1
		.amdhsa_reserve_flat_scratch 0
		.amdhsa_float_round_mode_32 0
		.amdhsa_float_round_mode_16_64 0
		.amdhsa_float_denorm_mode_32 3
		.amdhsa_float_denorm_mode_16_64 3
		.amdhsa_dx10_clamp 1
		.amdhsa_ieee_mode 1
		.amdhsa_fp16_overflow 0
		.amdhsa_exception_fp_ieee_invalid_op 0
		.amdhsa_exception_fp_denorm_src 0
		.amdhsa_exception_fp_ieee_div_zero 0
		.amdhsa_exception_fp_ieee_overflow 0
		.amdhsa_exception_fp_ieee_underflow 0
		.amdhsa_exception_fp_ieee_inexact 0
		.amdhsa_exception_int_div_zero 0
	.end_amdhsa_kernel
	.section	.text._Z26selective_scan_vllm_kernelI18SSMFwdKernelTraitsILi128ELi4ELi8ELb1ELb0ELb1EEEv13SSMParamsBase,"axG",@progbits,_Z26selective_scan_vllm_kernelI18SSMFwdKernelTraitsILi128ELi4ELi8ELb1ELb0ELb1EEEv13SSMParamsBase,comdat
.Lfunc_end3:
	.size	_Z26selective_scan_vllm_kernelI18SSMFwdKernelTraitsILi128ELi4ELi8ELb1ELb0ELb1EEEv13SSMParamsBase, .Lfunc_end3-_Z26selective_scan_vllm_kernelI18SSMFwdKernelTraitsILi128ELi4ELi8ELb1ELb0ELb1EEEv13SSMParamsBase
                                        ; -- End function
	.set _Z26selective_scan_vllm_kernelI18SSMFwdKernelTraitsILi128ELi4ELi8ELb1ELb0ELb1EEEv13SSMParamsBase.num_vgpr, 42
	.set _Z26selective_scan_vllm_kernelI18SSMFwdKernelTraitsILi128ELi4ELi8ELb1ELb0ELb1EEEv13SSMParamsBase.num_agpr, 0
	.set _Z26selective_scan_vllm_kernelI18SSMFwdKernelTraitsILi128ELi4ELi8ELb1ELb0ELb1EEEv13SSMParamsBase.numbered_sgpr, 71
	.set _Z26selective_scan_vllm_kernelI18SSMFwdKernelTraitsILi128ELi4ELi8ELb1ELb0ELb1EEEv13SSMParamsBase.num_named_barrier, 0
	.set _Z26selective_scan_vllm_kernelI18SSMFwdKernelTraitsILi128ELi4ELi8ELb1ELb0ELb1EEEv13SSMParamsBase.private_seg_size, 48
	.set _Z26selective_scan_vllm_kernelI18SSMFwdKernelTraitsILi128ELi4ELi8ELb1ELb0ELb1EEEv13SSMParamsBase.uses_vcc, 1
	.set _Z26selective_scan_vllm_kernelI18SSMFwdKernelTraitsILi128ELi4ELi8ELb1ELb0ELb1EEEv13SSMParamsBase.uses_flat_scratch, 0
	.set _Z26selective_scan_vllm_kernelI18SSMFwdKernelTraitsILi128ELi4ELi8ELb1ELb0ELb1EEEv13SSMParamsBase.has_dyn_sized_stack, 0
	.set _Z26selective_scan_vllm_kernelI18SSMFwdKernelTraitsILi128ELi4ELi8ELb1ELb0ELb1EEEv13SSMParamsBase.has_recursion, 0
	.set _Z26selective_scan_vllm_kernelI18SSMFwdKernelTraitsILi128ELi4ELi8ELb1ELb0ELb1EEEv13SSMParamsBase.has_indirect_call, 0
	.section	.AMDGPU.csdata,"",@progbits
; Kernel info:
; codeLenInByte = 2636
; TotalNumSgprs: 75
; NumVgprs: 42
; ScratchSize: 48
; MemoryBound: 0
; FloatMode: 240
; IeeeMode: 1
; LDSByteSize: 0 bytes/workgroup (compile time only)
; SGPRBlocks: 9
; VGPRBlocks: 10
; NumSGPRsForWavesPerEU: 75
; NumVGPRsForWavesPerEU: 42
; Occupancy: 5
; WaveLimiterHint : 0
; COMPUTE_PGM_RSRC2:SCRATCH_EN: 1
; COMPUTE_PGM_RSRC2:USER_SGPR: 6
; COMPUTE_PGM_RSRC2:TRAP_HANDLER: 0
; COMPUTE_PGM_RSRC2:TGID_X_EN: 1
; COMPUTE_PGM_RSRC2:TGID_Y_EN: 1
; COMPUTE_PGM_RSRC2:TGID_Z_EN: 0
; COMPUTE_PGM_RSRC2:TIDIG_COMP_CNT: 0
	.section	.text._Z26selective_scan_vllm_kernelI18SSMFwdKernelTraitsILi128ELi4ELi8ELb1ELb0ELb0EEEv13SSMParamsBase,"axG",@progbits,_Z26selective_scan_vllm_kernelI18SSMFwdKernelTraitsILi128ELi4ELi8ELb1ELb0ELb0EEEv13SSMParamsBase,comdat
	.protected	_Z26selective_scan_vllm_kernelI18SSMFwdKernelTraitsILi128ELi4ELi8ELb1ELb0ELb0EEEv13SSMParamsBase ; -- Begin function _Z26selective_scan_vllm_kernelI18SSMFwdKernelTraitsILi128ELi4ELi8ELb1ELb0ELb0EEEv13SSMParamsBase
	.globl	_Z26selective_scan_vllm_kernelI18SSMFwdKernelTraitsILi128ELi4ELi8ELb1ELb0ELb0EEEv13SSMParamsBase
	.p2align	8
	.type	_Z26selective_scan_vllm_kernelI18SSMFwdKernelTraitsILi128ELi4ELi8ELb1ELb0ELb0EEEv13SSMParamsBase,@function
_Z26selective_scan_vllm_kernelI18SSMFwdKernelTraitsILi128ELi4ELi8ELb1ELb0ELb0EEEv13SSMParamsBase: ; @_Z26selective_scan_vllm_kernelI18SSMFwdKernelTraitsILi128ELi4ELi8ELb1ELb0ELb0EEEv13SSMParamsBase
; %bb.0:
	s_load_dwordx2 s[16:17], s[4:5], 0x4
	s_add_u32 s0, s0, s8
	s_addc_u32 s1, s1, 0
	s_load_dwordx16 s[48:63], s[4:5], 0x18
	s_load_dwordx2 s[40:41], s[4:5], 0x88
	s_load_dwordx4 s[72:75], s[4:5], 0x78
	s_abs_i32 s12, s6
	s_waitcnt lgkmcnt(0)
	s_abs_i32 s11, s16
	v_cvt_f32_u32_e32 v1, s11
	s_sub_i32 s8, 0, s11
	s_ashr_i32 s13, s6, 31
	s_lshl_b32 s10, s7, 9
	v_rcp_iflag_f32_e32 v1, v1
	v_cmp_ne_u32_e64 s[44:45], 0, v0
	s_ashr_i32 s14, s16, 31
	v_cmp_eq_u32_e64 s[46:47], 0, v0
	v_mul_f32_e32 v1, 0x4f7ffffe, v1
	v_cvt_u32_f32_e32 v1, v1
	v_readfirstlane_b32 s9, v1
	s_mul_i32 s8, s8, s9
	s_mul_hi_u32 s8, s9, s8
	s_add_i32 s9, s9, s8
	s_mul_hi_u32 s15, s12, s9
	s_and_saveexec_b64 s[8:9], s[46:47]
	s_cbranch_execz .LBB4_2
; %bb.1:
	s_add_i32 s18, s10, 0x200
	s_min_i32 s18, s18, s17
	s_not_b32 s19, s10
	s_add_i32 s18, s18, s19
	s_ashr_i32 s19, s18, 31
	s_lshr_b32 s19, s19, 30
	s_add_i32 s19, s18, s19
	s_ashr_i32 s20, s19, 2
	s_and_b32 s19, s19, -4
	s_sub_i32 s18, s18, s19
	v_mov_b32_e32 v1, s20
	v_mov_b32_e32 v2, s18
	v_mov_b32_e32 v3, 0
	ds_write_b64 v3, v[1:2] offset:36944
.LBB4_2:
	s_or_b64 exec, exec, s[8:9]
	s_mul_i32 s9, s15, s11
	s_sub_i32 s9, s12, s9
	s_xor_b32 s8, s13, s14
	s_add_i32 s12, s15, 1
	s_sub_i32 s13, s9, s11
	s_cmp_ge_u32 s9, s11
	s_cselect_b32 s12, s12, s15
	s_cselect_b32 s9, s13, s9
	s_add_i32 s13, s12, 1
	s_cmp_ge_u32 s9, s11
	s_cselect_b32 s9, s13, s12
	s_xor_b32 s9, s9, s8
	s_sub_i32 s80, s9, s8
	s_mul_i32 s8, s80, s16
	s_sub_i32 s42, s6, s8
	s_mul_i32 s8, s80, s72
	s_ashr_i32 s9, s8, 31
	s_lshl_b64 s[76:77], s[8:9], 2
	s_add_u32 s11, s48, s76
	s_mul_i32 s8, s42, s73
	s_addc_u32 s12, s49, s77
	s_ashr_i32 s9, s8, 31
	s_lshl_b64 s[48:49], s[8:9], 2
	v_mov_b32_e32 v6, 0
	s_add_u32 s25, s11, s48
	s_waitcnt lgkmcnt(0)
	s_barrier
	ds_read_b64 v[3:4], v6 offset:36944
	s_addc_u32 s27, s12, s49
	s_ashr_i32 s43, s42, 31
	v_lshlrev_b32_e32 v5, 2, v0
	s_lshl_b64 s[20:21], s[42:43], 2
	v_add_u32_e32 v1, s10, v5
	s_add_u32 s10, s60, s20
	s_addc_u32 s11, s61, s21
	v_cmp_le_i32_e64 s[12:13], s17, v1
	v_cmp_gt_i32_e64 s[8:9], s17, v1
	v_ashrrev_i32_e32 v2, 31, v1
	v_mov_b32_e32 v7, 0
	s_and_saveexec_b64 s[14:15], s[8:9]
	s_cbranch_execz .LBB4_4
; %bb.3:
	v_lshlrev_b64 v[7:8], 2, v[1:2]
	v_mov_b32_e32 v9, s27
	v_add_co_u32_e32 v7, vcc, s25, v7
	v_addc_co_u32_e32 v8, vcc, v9, v8, vcc
	global_load_dword v7, v[7:8], off
.LBB4_4:
	s_or_b64 exec, exec, s[14:15]
	s_load_dword s24, s[10:11], 0x0
	s_add_u32 s10, s50, s76
	s_addc_u32 s11, s51, s77
	s_add_u32 s26, s10, s48
	s_addc_u32 s28, s11, s49
	s_and_saveexec_b64 s[10:11], s[8:9]
	s_cbranch_execz .LBB4_6
; %bb.5:
	v_lshlrev_b64 v[8:9], 2, v[1:2]
	v_mov_b32_e32 v6, s28
	v_add_co_u32_e32 v8, vcc, s26, v8
	v_addc_co_u32_e32 v9, vcc, v6, v9, vcc
	global_load_dword v6, v[8:9], off
.LBB4_6:
	s_or_b64 exec, exec, s[10:11]
	v_lshl_add_u32 v9, v5, 2, 0
	s_waitcnt vmcnt(0) lgkmcnt(0)
	v_add_f32_e32 v6, s24, v6
	v_add_u32_e32 v5, 16, v9
	ds_write2st64_b32 v5, v7, v6 offset1:8
	v_or_b32_e32 v5, 1, v1
	v_cmp_gt_i32_e64 s[10:11], s17, v5
	v_mov_b32_e32 v6, 0
	v_mov_b32_e32 v5, 0
	s_and_saveexec_b64 s[14:15], s[10:11]
	s_cbranch_execz .LBB4_8
; %bb.7:
	v_lshlrev_b64 v[7:8], 2, v[1:2]
	v_mov_b32_e32 v5, s27
	v_add_co_u32_e32 v7, vcc, s25, v7
	v_addc_co_u32_e32 v8, vcc, v5, v8, vcc
	global_load_dword v5, v[7:8], off offset:4
.LBB4_8:
	s_or_b64 exec, exec, s[14:15]
	s_and_saveexec_b64 s[14:15], s[10:11]
	s_cbranch_execz .LBB4_10
; %bb.9:
	v_lshlrev_b64 v[6:7], 2, v[1:2]
	v_mov_b32_e32 v8, s28
	v_add_co_u32_e32 v6, vcc, s26, v6
	v_addc_co_u32_e32 v7, vcc, v8, v7, vcc
	global_load_dword v6, v[6:7], off offset:4
.LBB4_10:
	s_or_b64 exec, exec, s[14:15]
	s_waitcnt vmcnt(0)
	v_add_f32_e32 v6, s24, v6
	v_add_u32_e32 v7, 20, v9
	ds_write2st64_b32 v7, v5, v6 offset1:8
	v_or_b32_e32 v5, 2, v1
	v_cmp_gt_i32_e64 s[14:15], s17, v5
	v_mov_b32_e32 v6, 0
	v_mov_b32_e32 v5, 0
	s_and_saveexec_b64 s[18:19], s[14:15]
	s_cbranch_execz .LBB4_12
; %bb.11:
	v_lshlrev_b64 v[7:8], 2, v[1:2]
	v_mov_b32_e32 v5, s27
	v_add_co_u32_e32 v7, vcc, s25, v7
	v_addc_co_u32_e32 v8, vcc, v5, v8, vcc
	global_load_dword v5, v[7:8], off offset:8
.LBB4_12:
	s_or_b64 exec, exec, s[18:19]
	s_and_saveexec_b64 s[18:19], s[14:15]
	s_cbranch_execz .LBB4_14
; %bb.13:
	v_lshlrev_b64 v[6:7], 2, v[1:2]
	v_mov_b32_e32 v8, s28
	v_add_co_u32_e32 v6, vcc, s26, v6
	v_addc_co_u32_e32 v7, vcc, v8, v7, vcc
	global_load_dword v6, v[6:7], off offset:8
.LBB4_14:
	s_or_b64 exec, exec, s[18:19]
	s_waitcnt vmcnt(0)
	v_add_f32_e32 v6, s24, v6
	v_add_u32_e32 v7, 24, v9
	ds_write2st64_b32 v7, v5, v6 offset1:8
	v_or_b32_e32 v5, 3, v1
	v_cmp_le_i32_e32 vcc, s17, v5
	v_cmp_gt_i32_e64 s[16:17], s17, v5
	v_mov_b32_e32 v5, 0
	s_and_saveexec_b64 s[22:23], s[16:17]
	s_cbranch_execz .LBB4_16
; %bb.15:
	v_lshlrev_b64 v[5:6], 2, v[1:2]
	v_mov_b32_e32 v7, s27
	v_add_co_u32_e64 v5, s[18:19], s25, v5
	v_addc_co_u32_e64 v6, s[18:19], v7, v6, s[18:19]
	global_load_dword v5, v[5:6], off offset:12
.LBB4_16:
	s_or_b64 exec, exec, s[22:23]
	s_and_saveexec_b64 s[18:19], vcc
	s_xor_b64 s[18:19], exec, s[18:19]
	s_or_saveexec_b64 s[18:19], s[18:19]
	s_load_dword s33, s[4:5], 0x10
	s_load_dwordx8 s[64:71], s[4:5], 0x58
	v_mov_b32_e32 v13, 0
	v_mov_b32_e32 v6, 0
	s_xor_b64 exec, exec, s[18:19]
	s_cbranch_execz .LBB4_18
; %bb.17:
	v_lshlrev_b64 v[6:7], 2, v[1:2]
	v_mov_b32_e32 v8, s28
	v_add_co_u32_e32 v6, vcc, s26, v6
	v_addc_co_u32_e32 v7, vcc, v8, v7, vcc
	global_load_dword v6, v[6:7], off offset:12
.LBB4_18:
	s_or_b64 exec, exec, s[18:19]
	s_add_u32 s4, s58, s20
	s_waitcnt vmcnt(0)
	v_add_f32_e32 v6, s24, v6
	v_add_u32_e32 v7, 28, v9
	s_addc_u32 s5, s59, s21
	ds_write2st64_b32 v7, v5, v6 offset1:8
	s_waitcnt lgkmcnt(0)
	s_barrier
	s_load_dword s4, s[4:5], 0x0
	ds_read2_b32 v[5:6], v9 offset0:4 offset1:5
	ds_read2_b32 v[7:8], v9 offset0:6 offset1:7
	s_lshl_b32 s50, s42, 3
	s_cmp_lg_u32 s7, 0
	s_mul_i32 s78, s80, s74
	s_waitcnt lgkmcnt(0)
	v_mul_f32_e32 v14, s4, v5
	v_mbcnt_lo_u32_b32 v5, -1, 0
	v_mbcnt_hi_u32_b32 v5, -1, v5
	v_mul_f32_e32 v12, s4, v6
	v_and_b32_e32 v6, 15, v5
	v_cmp_ne_u32_e64 s[18:19], 0, v6
	v_cmp_lt_u32_e64 s[20:21], 1, v6
	v_cmp_lt_u32_e64 s[22:23], 3, v6
	v_cmp_lt_u32_e64 s[24:25], 7, v6
	v_and_b32_e32 v6, 16, v5
	v_cmp_ne_u32_e64 s[26:27], 0, v6
	v_or_b32_e32 v6, 63, v0
	v_mul_f32_e32 v11, s4, v7
	v_cmp_eq_u32_e64 s[30:31], v0, v6
	v_subrev_co_u32_e64 v6, s[38:39], 1, v5
	v_and_b32_e32 v7, 64, v5
	v_cmp_lt_i32_e32 vcc, v6, v7
	v_cndmask_b32_e32 v6, v6, v5, vcc
	v_lshlrev_b32_e32 v15, 2, v6
	v_lshrrev_b32_e32 v6, 3, v0
	v_mul_f32_e32 v10, s4, v8
	s_cselect_b64 s[4:5], -1, 0
	s_mul_i32 s80, s80, s40
	s_mul_i32 s74, s42, s41
	v_and_b32_e32 v6, 8, v6
	s_mul_i32 s6, s6, s33
	s_ashr_i32 s51, s50, 31
	s_add_i32 s74, s74, s80
	v_add_u32_e32 v16, 0, v6
	v_lshlrev_b32_e32 v6, 3, v0
	v_cmp_eq_u32_e64 s[42:43], v0, v3
	v_lshlrev_b32_e32 v3, 3, v4
	s_ashr_i32 s80, s7, 31
	s_lshl_b32 s6, s6, 3
	s_lshl_b64 s[50:51], s[50:51], 2
	v_cmp_lt_u32_e64 s[28:29], 31, v5
	v_sub_u32_e32 v6, 0, v6
	v_and_b32_e32 v5, 1, v5
	v_mov_b32_e32 v18, v3
	v_mov_b32_e32 v3, 0x1010
	s_add_u32 s50, s52, s50
	s_mov_b32 s79, 0
	v_cmp_gt_u32_e64 s[34:35], 2, v0
	v_cmp_lt_u32_e64 s[36:37], 63, v0
	v_cmp_eq_u32_e64 s[40:41], 0, v5
	v_add_u32_e32 v17, -8, v16
	v_lshl_add_u32 v19, v0, 4, v3
	s_addc_u32 s51, s53, s51
	v_add_u32_e32 v20, v9, v6
	s_mov_b32 s52, s74
	s_branch .LBB4_20
.LBB4_19:                               ;   in Loop: Header=BB4_20 Depth=1
	s_or_b64 exec, exec, s[58:59]
	s_add_i32 s79, s79, 4
	s_add_i32 s78, s78, s75
	s_add_i32 s52, s52, 1
	s_add_i32 s6, s6, s33
	s_add_u32 s50, s50, 4
	v_fmac_f32_e32 v21, v4, v27
	v_fmac_f32_e32 v28, v4, v22
	;; [unrolled: 1-line block ×4, first 2 shown]
	s_addc_u32 s51, s51, 0
	s_waitcnt lgkmcnt(1)
	v_fmac_f32_e32 v14, v7, v21
	v_fmac_f32_e32 v12, v8, v28
	s_waitcnt lgkmcnt(0)
	v_fmac_f32_e32 v11, v5, v26
	v_fmac_f32_e32 v10, v6, v25
	s_cmp_eq_u32 s79, 32
	v_add_u32_e32 v19, 0x800, v19
	s_waitcnt vmcnt(0)
	s_barrier
	s_cbranch_scc1 .LBB4_64
.LBB4_20:                               ; =>This Inner Loop Header: Depth=1
	s_and_saveexec_b64 s[58:59], s[46:47]
	s_cbranch_execz .LBB4_25
; %bb.21:                               ;   in Loop: Header=BB4_20 Depth=1
	s_and_b64 vcc, exec, s[4:5]
	s_cbranch_vccz .LBB4_63
; %bb.22:                               ;   in Loop: Header=BB4_20 Depth=1
	s_ashr_i32 s53, s6, 31
	s_add_u32 s60, s7, s6
	s_addc_u32 s61, s80, s53
	s_lshl_b64 s[60:61], s[60:61], 2
	s_add_u32 s72, s68, s60
	s_addc_u32 s73, s69, s61
	global_load_dword v3, v13, s[72:73] offset:-4
	s_add_u32 s53, s70, s60
	s_addc_u32 s61, s71, s61
	s_add_u32 s60, s53, -4
	s_addc_u32 s61, s61, -1
	s_cbranch_execnz .LBB4_24
.LBB4_23:                               ;   in Loop: Header=BB4_20 Depth=1
	s_ashr_i32 s53, s52, 31
	s_lshl_b64 s[60:61], s[52:53], 2
	s_add_u32 s60, s64, s60
	s_addc_u32 s61, s65, s61
	s_waitcnt vmcnt(0)
	v_mov_b32_e32 v3, 1.0
.LBB4_24:                               ;   in Loop: Header=BB4_20 Depth=1
	global_load_dword v4, v13, s[60:61]
	s_add_i32 s53, s79, 0
	v_mov_b32_e32 v5, s53
	v_add_u32_e32 v5, 0x9000, v5
	s_waitcnt vmcnt(0)
	ds_write2_b32 v5, v3, v4 offset0:4 offset1:12
.LBB4_25:                               ;   in Loop: Header=BB4_20 Depth=1
	s_or_b64 exec, exec, s[58:59]
	v_add_u32_e32 v7, 0, v19
	s_and_saveexec_b64 s[58:59], s[12:13]
	s_xor_b64 s[58:59], exec, s[58:59]
; %bb.26:                               ;   in Loop: Header=BB4_20 Depth=1
	ds_write_b32 v7, v13
; %bb.27:                               ;   in Loop: Header=BB4_20 Depth=1
	s_or_saveexec_b64 s[58:59], s[58:59]
	v_mov_b32_e32 v3, 0
	v_mov_b32_e32 v4, 0
	s_xor_b64 exec, exec, s[58:59]
	s_cbranch_execz .LBB4_29
; %bb.28:                               ;   in Loop: Header=BB4_20 Depth=1
	v_add_u32_e32 v4, s78, v1
	v_ashrrev_i32_e32 v5, 31, v4
	v_lshlrev_b64 v[4:5], 2, v[4:5]
	v_mov_b32_e32 v6, s55
	v_add_co_u32_e32 v21, vcc, s54, v4
	v_addc_co_u32_e32 v22, vcc, v6, v5, vcc
	v_mov_b32_e32 v8, s57
	v_add_co_u32_e32 v4, vcc, s56, v4
	v_addc_co_u32_e32 v5, vcc, v8, v5, vcc
	global_load_dword v6, v[21:22], off
	s_waitcnt vmcnt(0)
	ds_write_b32 v7, v6
	global_load_dword v4, v[4:5], off
.LBB4_29:                               ;   in Loop: Header=BB4_20 Depth=1
	s_or_b64 exec, exec, s[58:59]
	s_waitcnt vmcnt(0)
	ds_write_b32 v7, v4 offset:16384
	s_and_saveexec_b64 s[58:59], s[10:11]
	s_cbranch_execz .LBB4_31
; %bb.30:                               ;   in Loop: Header=BB4_20 Depth=1
	s_ashr_i32 s53, s78, 31
	v_mov_b32_e32 v4, s53
	v_add_co_u32_e32 v3, vcc, s78, v1
	v_addc_co_u32_e32 v4, vcc, v4, v2, vcc
	v_lshlrev_b64 v[3:4], 2, v[3:4]
	v_mov_b32_e32 v5, s55
	v_add_co_u32_e32 v3, vcc, s54, v3
	v_addc_co_u32_e32 v4, vcc, v5, v4, vcc
	global_load_dword v3, v[3:4], off offset:4
.LBB4_31:                               ;   in Loop: Header=BB4_20 Depth=1
	s_or_b64 exec, exec, s[58:59]
	s_waitcnt vmcnt(0)
	ds_write_b32 v7, v3 offset:4
	v_mov_b32_e32 v3, 0
	v_mov_b32_e32 v4, 0
	s_and_saveexec_b64 s[58:59], s[10:11]
	s_cbranch_execz .LBB4_33
; %bb.32:                               ;   in Loop: Header=BB4_20 Depth=1
	s_ashr_i32 s53, s78, 31
	v_mov_b32_e32 v5, s53
	v_add_co_u32_e32 v4, vcc, s78, v1
	v_addc_co_u32_e32 v5, vcc, v5, v2, vcc
	v_lshlrev_b64 v[4:5], 2, v[4:5]
	v_mov_b32_e32 v6, s57
	v_add_co_u32_e32 v4, vcc, s56, v4
	v_addc_co_u32_e32 v5, vcc, v6, v5, vcc
	global_load_dword v4, v[4:5], off offset:4
.LBB4_33:                               ;   in Loop: Header=BB4_20 Depth=1
	s_or_b64 exec, exec, s[58:59]
	s_waitcnt vmcnt(0)
	ds_write_b32 v7, v4 offset:16388
	s_and_saveexec_b64 s[58:59], s[14:15]
	s_cbranch_execz .LBB4_35
; %bb.34:                               ;   in Loop: Header=BB4_20 Depth=1
	s_ashr_i32 s53, s78, 31
	v_mov_b32_e32 v4, s53
	v_add_co_u32_e32 v3, vcc, s78, v1
	v_addc_co_u32_e32 v4, vcc, v4, v2, vcc
	v_lshlrev_b64 v[3:4], 2, v[3:4]
	v_mov_b32_e32 v5, s55
	v_add_co_u32_e32 v3, vcc, s54, v3
	v_addc_co_u32_e32 v4, vcc, v5, v4, vcc
	global_load_dword v3, v[3:4], off offset:8
.LBB4_35:                               ;   in Loop: Header=BB4_20 Depth=1
	s_or_b64 exec, exec, s[58:59]
	s_waitcnt vmcnt(0)
	ds_write_b32 v7, v3 offset:8
	v_mov_b32_e32 v3, 0
	v_mov_b32_e32 v4, 0
	s_and_saveexec_b64 s[58:59], s[14:15]
	s_cbranch_execz .LBB4_37
; %bb.36:                               ;   in Loop: Header=BB4_20 Depth=1
	s_ashr_i32 s53, s78, 31
	v_mov_b32_e32 v5, s53
	v_add_co_u32_e32 v4, vcc, s78, v1
	v_addc_co_u32_e32 v5, vcc, v5, v2, vcc
	v_lshlrev_b64 v[4:5], 2, v[4:5]
	v_mov_b32_e32 v6, s57
	v_add_co_u32_e32 v4, vcc, s56, v4
	v_addc_co_u32_e32 v5, vcc, v6, v5, vcc
	global_load_dword v4, v[4:5], off offset:8
.LBB4_37:                               ;   in Loop: Header=BB4_20 Depth=1
	s_or_b64 exec, exec, s[58:59]
	s_waitcnt vmcnt(0)
	ds_write_b32 v7, v4 offset:16392
	s_and_saveexec_b64 s[58:59], s[16:17]
	s_cbranch_execz .LBB4_39
; %bb.38:                               ;   in Loop: Header=BB4_20 Depth=1
	s_ashr_i32 s53, s78, 31
	v_mov_b32_e32 v4, s53
	v_add_co_u32_e32 v3, vcc, s78, v1
	v_addc_co_u32_e32 v4, vcc, v4, v2, vcc
	v_lshlrev_b64 v[3:4], 2, v[3:4]
	v_mov_b32_e32 v5, s55
	v_add_co_u32_e32 v3, vcc, s54, v3
	v_addc_co_u32_e32 v4, vcc, v5, v4, vcc
	global_load_dword v3, v[3:4], off offset:12
.LBB4_39:                               ;   in Loop: Header=BB4_20 Depth=1
	s_or_b64 exec, exec, s[58:59]
	s_waitcnt vmcnt(0)
	ds_write_b32 v7, v3 offset:12
	v_mov_b32_e32 v3, 0
	s_and_saveexec_b64 s[58:59], s[16:17]
	s_cbranch_execz .LBB4_41
; %bb.40:                               ;   in Loop: Header=BB4_20 Depth=1
	s_ashr_i32 s53, s78, 31
	v_mov_b32_e32 v4, s53
	v_add_co_u32_e32 v3, vcc, s78, v1
	v_addc_co_u32_e32 v4, vcc, v4, v2, vcc
	v_lshlrev_b64 v[3:4], 2, v[3:4]
	v_mov_b32_e32 v5, s57
	v_add_co_u32_e32 v3, vcc, s56, v3
	v_addc_co_u32_e32 v4, vcc, v5, v4, vcc
	global_load_dword v3, v[3:4], off offset:12
.LBB4_41:                               ;   in Loop: Header=BB4_20 Depth=1
	s_or_b64 exec, exec, s[58:59]
	s_waitcnt vmcnt(0)
	ds_write_b32 v7, v3 offset:16396
	s_waitcnt lgkmcnt(0)
	s_barrier
	global_load_dword v33, v13, s[50:51]
	v_add_u32_e32 v3, 0x810, v9
	v_add_u32_e32 v4, 0x818, v9
	ds_read2_b32 v[5:6], v9 offset0:4 offset1:5
	ds_read2_b32 v[22:23], v9 offset0:6 offset1:7
	ds_read2_b32 v[24:25], v7 offset1:1
	ds_read2_b32 v[26:27], v3 offset1:1
	ds_read2_b32 v[28:29], v7 offset0:2 offset1:3
	ds_read2_b32 v[31:32], v4 offset1:1
	s_add_i32 s53, s79, 0
	v_mov_b32_e32 v8, s53
	v_add_u32_e32 v3, 0x9000, v8
	s_waitcnt lgkmcnt(2)
	v_mul_f32_e32 v8, v26, v24
	v_mul_f32_e32 v24, v27, v25
	s_waitcnt lgkmcnt(0)
	v_mul_f32_e32 v25, v31, v28
	v_mul_f32_e32 v21, v5, v8
	;; [unrolled: 1-line block ×6, first 2 shown]
	ds_read2_b32 v[3:4], v3 offset0:4 offset1:12
	s_waitcnt vmcnt(0)
	v_mul_f32_e32 v5, v26, v33
	v_mul_f32_e32 v6, v27, v33
	v_mul_f32_e32 v22, v31, v33
	v_mul_f32_e32 v5, 0x3fb8aa3b, v5
	v_mul_f32_e32 v6, 0x3fb8aa3b, v6
	v_mul_f32_e32 v23, v32, v33
	v_mul_f32_e32 v22, 0x3fb8aa3b, v22
	v_exp_f32_e32 v27, v5
	v_exp_f32_e32 v33, v6
	v_mul_f32_e32 v5, 0x3fb8aa3b, v23
	v_exp_f32_e32 v32, v22
	v_exp_f32_e32 v31, v5
	v_mul_f32_e32 v22, v27, v33
	v_fma_f32 v28, v21, v33, v8
	v_mul_f32_e32 v23, v22, v32
	v_fma_f32 v26, v28, v32, v29
	;; [unrolled: 2-line block ×3, first 2 shown]
	v_mov_b32_e32 v34, v25
	v_mov_b32_dpp v6, v24 row_shr:1 row_mask:0xf bank_mask:0xf
	v_mov_b32_dpp v5, v25 row_shr:1 row_mask:0xf bank_mask:0xf
	v_mov_b32_e32 v35, v24
	s_and_saveexec_b64 s[58:59], s[18:19]
; %bb.42:                               ;   in Loop: Header=BB4_20 Depth=1
	v_mov_b32_e32 v34, v25
	v_mul_f32_e32 v35, v24, v6
	v_fmac_f32_e32 v34, v24, v5
; %bb.43:                               ;   in Loop: Header=BB4_20 Depth=1
	s_or_b64 exec, exec, s[58:59]
	v_mov_b32_dpp v6, v35 row_shr:2 row_mask:0xf bank_mask:0xf
	v_mov_b32_dpp v5, v34 row_shr:2 row_mask:0xf bank_mask:0xf
	s_and_saveexec_b64 s[58:59], s[20:21]
; %bb.44:                               ;   in Loop: Header=BB4_20 Depth=1
	v_mul_f32_e32 v6, v35, v6
	v_fmac_f32_e32 v34, v35, v5
	v_mov_b32_e32 v35, v6
; %bb.45:                               ;   in Loop: Header=BB4_20 Depth=1
	s_or_b64 exec, exec, s[58:59]
	s_nop 0
	v_mov_b32_dpp v6, v35 row_shr:4 row_mask:0xf bank_mask:0xf
	v_mov_b32_dpp v5, v34 row_shr:4 row_mask:0xf bank_mask:0xf
	s_and_saveexec_b64 s[58:59], s[22:23]
; %bb.46:                               ;   in Loop: Header=BB4_20 Depth=1
	v_mul_f32_e32 v6, v35, v6
	v_fmac_f32_e32 v34, v35, v5
	v_mov_b32_e32 v35, v6
; %bb.47:                               ;   in Loop: Header=BB4_20 Depth=1
	s_or_b64 exec, exec, s[58:59]
	s_nop 0
	;; [unrolled: 10-line block ×3, first 2 shown]
	v_mov_b32_dpp v6, v35 row_bcast:15 row_mask:0xf bank_mask:0xf
	v_mov_b32_dpp v5, v34 row_bcast:15 row_mask:0xf bank_mask:0xf
	s_and_saveexec_b64 s[58:59], s[26:27]
; %bb.50:                               ;   in Loop: Header=BB4_20 Depth=1
	v_mul_f32_e32 v6, v35, v6
	v_fmac_f32_e32 v34, v35, v5
	v_mov_b32_e32 v35, v6
; %bb.51:                               ;   in Loop: Header=BB4_20 Depth=1
	s_or_b64 exec, exec, s[58:59]
	s_nop 0
	v_mov_b32_dpp v5, v35 row_bcast:31 row_mask:0xf bank_mask:0xf
	v_mov_b32_dpp v6, v34 row_bcast:31 row_mask:0xf bank_mask:0xf
	s_and_saveexec_b64 s[58:59], s[28:29]
; %bb.52:                               ;   in Loop: Header=BB4_20 Depth=1
	v_fmac_f32_e32 v34, v35, v6
	v_mul_f32_e32 v35, v35, v5
; %bb.53:                               ;   in Loop: Header=BB4_20 Depth=1
	s_or_b64 exec, exec, s[58:59]
	s_and_saveexec_b64 s[58:59], s[30:31]
; %bb.54:                               ;   in Loop: Header=BB4_20 Depth=1
	ds_write2_b32 v16, v35, v34 offset1:1
; %bb.55:                               ;   in Loop: Header=BB4_20 Depth=1
	s_or_b64 exec, exec, s[58:59]
	s_waitcnt lgkmcnt(0)
	s_barrier
	s_and_saveexec_b64 s[58:59], s[34:35]
	s_cbranch_execz .LBB4_57
; %bb.56:                               ;   in Loop: Header=BB4_20 Depth=1
	ds_read2_b32 v[5:6], v20 offset1:1
	s_waitcnt lgkmcnt(0)
	s_nop 0
	v_mov_b32_dpp v36, v5 row_shr:1 row_mask:0xf bank_mask:0xf
	v_mov_b32_dpp v37, v6 row_shr:1 row_mask:0xf bank_mask:0xf
	v_fma_f32 v37, v5, v37, v6
	v_mul_f32_e32 v36, v5, v36
	v_cndmask_b32_e64 v5, v36, v5, s[40:41]
	v_cndmask_b32_e64 v6, v37, v6, s[40:41]
	ds_write2_b32 v20, v5, v6 offset1:1
.LBB4_57:                               ;   in Loop: Header=BB4_20 Depth=1
	s_or_b64 exec, exec, s[58:59]
	s_waitcnt lgkmcnt(0)
	s_barrier
                                        ; implicit-def: $vgpr6
	s_and_saveexec_b64 s[58:59], s[36:37]
	s_cbranch_execz .LBB4_59
; %bb.58:                               ;   in Loop: Header=BB4_20 Depth=1
	ds_read2_b32 v[5:6], v17 offset1:1
	s_waitcnt lgkmcnt(0)
	v_mul_f32_e32 v36, v35, v5
	v_fmac_f32_e32 v34, v35, v6
	v_mov_b32_e32 v35, v36
.LBB4_59:                               ;   in Loop: Header=BB4_20 Depth=1
	s_or_b64 exec, exec, s[58:59]
	ds_bpermute_b32 v35, v15, v35
	ds_bpermute_b32 v34, v15, v34
	s_and_saveexec_b64 s[58:59], s[44:45]
	s_cbranch_execz .LBB4_61
; %bb.60:                               ;   in Loop: Header=BB4_20 Depth=1
	s_waitcnt lgkmcnt(0)
	v_cndmask_b32_e64 v6, v34, v6, s[38:39]
	v_cndmask_b32_e64 v5, v35, v5, s[38:39]
	v_fmac_f32_e32 v21, v27, v6
	v_mul_f32_e32 v5, v27, v5
	v_fmac_f32_e32 v8, v21, v33
	v_mul_f32_e32 v22, v5, v33
	;; [unrolled: 2-line block ×4, first 2 shown]
	v_mov_b32_e32 v25, v30
	v_mov_b32_e32 v26, v29
	;; [unrolled: 1-line block ×4, first 2 shown]
	;;#ASMSTART
	;;#ASMEND
.LBB4_61:                               ;   in Loop: Header=BB4_20 Depth=1
	s_or_b64 exec, exec, s[58:59]
	v_add_u32_e32 v5, 0x4000, v7
	v_add_u32_e32 v6, 0x4008, v7
	buffer_store_dword v27, off, s[0:3], 0
	buffer_store_dword v21, off, s[0:3], 0 offset:4
	buffer_store_dword v22, off, s[0:3], 0 offset:8
	;; [unrolled: 1-line block ×7, first 2 shown]
	s_waitcnt vmcnt(0) lgkmcnt(0)
	s_barrier
	ds_read2_b32 v[7:8], v5 offset1:1
	ds_read2_b32 v[5:6], v6 offset1:1
	s_and_saveexec_b64 s[58:59], s[42:43]
	s_cbranch_execz .LBB4_19
; %bb.62:                               ;   in Loop: Header=BB4_20 Depth=1
	buffer_load_dword v29, v18, s[0:3], 0 offen
	buffer_load_dword v30, v18, s[0:3], 0 offen offset:4
	s_add_i32 s60, s7, s6
	s_ashr_i32 s61, s60, 31
	s_lshl_b64 s[60:61], s[60:61], 2
	s_add_u32 s72, s68, s60
	v_mov_b32_e32 v31, s53
	s_addc_u32 s73, s69, s61
	v_add_u32_e32 v31, 0x9000, v31
	s_add_u32 s60, s70, s60
	s_addc_u32 s61, s71, s61
	s_waitcnt vmcnt(1)
	v_mul_f32_e32 v3, v3, v29
	s_waitcnt vmcnt(0)
	v_fmac_f32_e32 v30, v4, v29
	global_store_dword v13, v3, s[72:73]
	global_store_dword v13, v30, s[60:61]
	ds_write2_b32 v31, v3, v30 offset0:4 offset1:12
	s_branch .LBB4_19
.LBB4_63:                               ;   in Loop: Header=BB4_20 Depth=1
                                        ; implicit-def: $sgpr60_sgpr61
                                        ; implicit-def: $vgpr3
	s_branch .LBB4_23
.LBB4_64:
	s_add_u32 s4, s62, s76
	s_addc_u32 s5, s63, s77
	s_add_u32 s13, s4, s48
	s_addc_u32 s18, s5, s49
	;; [unrolled: 2-line block ×3, first 2 shown]
	s_add_u32 s6, s4, s48
	v_lshlrev_b64 v[1:2], 2, v[1:2]
	s_addc_u32 s12, s5, s49
	s_and_saveexec_b64 s[4:5], s[8:9]
	s_cbranch_execnz .LBB4_72
; %bb.65:
	s_or_b64 exec, exec, s[4:5]
	s_and_saveexec_b64 s[4:5], s[10:11]
	s_cbranch_execnz .LBB4_73
.LBB4_66:
	s_or_b64 exec, exec, s[4:5]
	s_and_saveexec_b64 s[4:5], s[14:15]
	s_cbranch_execnz .LBB4_74
.LBB4_67:
	s_or_b64 exec, exec, s[4:5]
	s_and_saveexec_b64 s[4:5], s[16:17]
	s_cbranch_execz .LBB4_69
.LBB4_68:
	v_mov_b32_e32 v4, s18
	v_add_co_u32_e32 v3, vcc, s13, v1
	v_addc_co_u32_e32 v4, vcc, v4, v2, vcc
	global_load_dword v3, v[3:4], off offset:12
	s_waitcnt vmcnt(0)
	v_mul_f32_e32 v4, 0xbfb8aa3b, v3
	v_exp_f32_e32 v4, v4
	v_add_f32_e32 v4, 1.0, v4
	v_div_scale_f32 v5, s[8:9], v4, v4, v3
	v_div_scale_f32 v6, vcc, v3, v4, v3
	v_rcp_f32_e32 v7, v5
	v_fma_f32 v8, -v5, v7, 1.0
	v_fmac_f32_e32 v7, v8, v7
	v_mul_f32_e32 v8, v6, v7
	v_fma_f32 v9, -v5, v8, v6
	v_fmac_f32_e32 v8, v9, v7
	v_fma_f32 v5, -v5, v8, v6
	v_div_fmas_f32 v5, v5, v7, v8
	v_mov_b32_e32 v6, s12
	v_add_co_u32_e32 v1, vcc, s6, v1
	v_addc_co_u32_e32 v2, vcc, v6, v2, vcc
	v_div_fixup_f32 v3, v5, v4, v3
	v_mul_f32_e32 v3, v10, v3
	global_store_dword v[1:2], v3, off offset:12
.LBB4_69:
	s_or_b64 exec, exec, s[4:5]
	s_add_i32 s33, s33, -1
	s_cmp_eq_u32 s7, s33
	s_cselect_b64 s[4:5], -1, 0
	v_cmp_gt_u32_e32 vcc, 8, v0
	s_and_b64 s[4:5], s[4:5], vcc
	s_and_saveexec_b64 s[6:7], s[4:5]
	s_cbranch_execz .LBB4_71
; %bb.70:
	v_lshl_add_u32 v1, v0, 2, 0
	v_add_u32_e32 v0, s74, v0
	ds_read_b32 v2, v1 offset:36912
	v_ashrrev_i32_e32 v1, 31, v0
	v_lshlrev_b64 v[0:1], 2, v[0:1]
	v_mov_b32_e32 v3, s65
	v_add_co_u32_e32 v0, vcc, s64, v0
	v_addc_co_u32_e32 v1, vcc, v3, v1, vcc
	s_waitcnt lgkmcnt(0)
	global_store_dword v[0:1], v2, off
.LBB4_71:
	s_endpgm
.LBB4_72:
	v_mov_b32_e32 v4, s18
	v_add_co_u32_e32 v3, vcc, s13, v1
	v_addc_co_u32_e32 v4, vcc, v4, v2, vcc
	global_load_dword v3, v[3:4], off
	s_waitcnt vmcnt(0)
	v_mul_f32_e32 v4, 0xbfb8aa3b, v3
	v_exp_f32_e32 v4, v4
	v_add_f32_e32 v4, 1.0, v4
	v_div_scale_f32 v5, s[8:9], v4, v4, v3
	v_div_scale_f32 v6, vcc, v3, v4, v3
	v_rcp_f32_e32 v7, v5
	v_fma_f32 v8, -v5, v7, 1.0
	v_fmac_f32_e32 v7, v8, v7
	v_mul_f32_e32 v8, v6, v7
	v_fma_f32 v9, -v5, v8, v6
	v_fmac_f32_e32 v8, v9, v7
	v_fma_f32 v5, -v5, v8, v6
	v_div_fmas_f32 v5, v5, v7, v8
	v_mov_b32_e32 v6, s12
	v_div_fixup_f32 v3, v5, v4, v3
	v_mul_f32_e32 v5, v14, v3
	v_add_co_u32_e32 v3, vcc, s6, v1
	v_addc_co_u32_e32 v4, vcc, v6, v2, vcc
	global_store_dword v[3:4], v5, off
	s_or_b64 exec, exec, s[4:5]
	s_and_saveexec_b64 s[4:5], s[10:11]
	s_cbranch_execz .LBB4_66
.LBB4_73:
	v_mov_b32_e32 v4, s18
	v_add_co_u32_e32 v3, vcc, s13, v1
	v_addc_co_u32_e32 v4, vcc, v4, v2, vcc
	global_load_dword v3, v[3:4], off offset:4
	s_waitcnt vmcnt(0)
	v_mul_f32_e32 v4, 0xbfb8aa3b, v3
	v_exp_f32_e32 v4, v4
	v_add_f32_e32 v4, 1.0, v4
	v_div_scale_f32 v5, s[8:9], v4, v4, v3
	v_div_scale_f32 v6, vcc, v3, v4, v3
	v_rcp_f32_e32 v7, v5
	v_fma_f32 v8, -v5, v7, 1.0
	v_fmac_f32_e32 v7, v8, v7
	v_mul_f32_e32 v8, v6, v7
	v_fma_f32 v9, -v5, v8, v6
	v_fmac_f32_e32 v8, v9, v7
	v_fma_f32 v5, -v5, v8, v6
	v_div_fmas_f32 v5, v5, v7, v8
	v_mov_b32_e32 v6, s12
	v_div_fixup_f32 v3, v5, v4, v3
	v_mul_f32_e32 v5, v12, v3
	v_add_co_u32_e32 v3, vcc, s6, v1
	v_addc_co_u32_e32 v4, vcc, v6, v2, vcc
	global_store_dword v[3:4], v5, off offset:4
	s_or_b64 exec, exec, s[4:5]
	s_and_saveexec_b64 s[4:5], s[14:15]
	s_cbranch_execz .LBB4_67
.LBB4_74:
	v_mov_b32_e32 v4, s18
	v_add_co_u32_e32 v3, vcc, s13, v1
	v_addc_co_u32_e32 v4, vcc, v4, v2, vcc
	global_load_dword v3, v[3:4], off offset:8
	s_waitcnt vmcnt(0)
	v_mul_f32_e32 v4, 0xbfb8aa3b, v3
	v_exp_f32_e32 v4, v4
	v_add_f32_e32 v4, 1.0, v4
	v_div_scale_f32 v5, s[8:9], v4, v4, v3
	v_div_scale_f32 v6, vcc, v3, v4, v3
	v_rcp_f32_e32 v7, v5
	v_fma_f32 v8, -v5, v7, 1.0
	v_fmac_f32_e32 v7, v8, v7
	v_mul_f32_e32 v8, v6, v7
	v_fma_f32 v9, -v5, v8, v6
	v_fmac_f32_e32 v8, v9, v7
	v_fma_f32 v5, -v5, v8, v6
	v_div_fmas_f32 v5, v5, v7, v8
	v_mov_b32_e32 v6, s12
	v_div_fixup_f32 v3, v5, v4, v3
	v_mul_f32_e32 v5, v11, v3
	v_add_co_u32_e32 v3, vcc, s6, v1
	v_addc_co_u32_e32 v4, vcc, v6, v2, vcc
	global_store_dword v[3:4], v5, off offset:8
	s_or_b64 exec, exec, s[4:5]
	s_and_saveexec_b64 s[4:5], s[16:17]
	s_cbranch_execnz .LBB4_68
	s_branch .LBB4_69
	.section	.rodata,"a",@progbits
	.p2align	6, 0x0
	.amdhsa_kernel _Z26selective_scan_vllm_kernelI18SSMFwdKernelTraitsILi128ELi4ELi8ELb1ELb0ELb0EEEv13SSMParamsBase
		.amdhsa_group_segment_fixed_size 0
		.amdhsa_private_segment_fixed_size 48
		.amdhsa_kernarg_size 144
		.amdhsa_user_sgpr_count 6
		.amdhsa_user_sgpr_private_segment_buffer 1
		.amdhsa_user_sgpr_dispatch_ptr 0
		.amdhsa_user_sgpr_queue_ptr 0
		.amdhsa_user_sgpr_kernarg_segment_ptr 1
		.amdhsa_user_sgpr_dispatch_id 0
		.amdhsa_user_sgpr_flat_scratch_init 0
		.amdhsa_user_sgpr_private_segment_size 0
		.amdhsa_uses_dynamic_stack 0
		.amdhsa_system_sgpr_private_segment_wavefront_offset 1
		.amdhsa_system_sgpr_workgroup_id_x 1
		.amdhsa_system_sgpr_workgroup_id_y 1
		.amdhsa_system_sgpr_workgroup_id_z 0
		.amdhsa_system_sgpr_workgroup_info 0
		.amdhsa_system_vgpr_workitem_id 0
		.amdhsa_next_free_vgpr 38
		.amdhsa_next_free_sgpr 81
		.amdhsa_reserve_vcc 1
		.amdhsa_reserve_flat_scratch 0
		.amdhsa_float_round_mode_32 0
		.amdhsa_float_round_mode_16_64 0
		.amdhsa_float_denorm_mode_32 3
		.amdhsa_float_denorm_mode_16_64 3
		.amdhsa_dx10_clamp 1
		.amdhsa_ieee_mode 1
		.amdhsa_fp16_overflow 0
		.amdhsa_exception_fp_ieee_invalid_op 0
		.amdhsa_exception_fp_denorm_src 0
		.amdhsa_exception_fp_ieee_div_zero 0
		.amdhsa_exception_fp_ieee_overflow 0
		.amdhsa_exception_fp_ieee_underflow 0
		.amdhsa_exception_fp_ieee_inexact 0
		.amdhsa_exception_int_div_zero 0
	.end_amdhsa_kernel
	.section	.text._Z26selective_scan_vllm_kernelI18SSMFwdKernelTraitsILi128ELi4ELi8ELb1ELb0ELb0EEEv13SSMParamsBase,"axG",@progbits,_Z26selective_scan_vllm_kernelI18SSMFwdKernelTraitsILi128ELi4ELi8ELb1ELb0ELb0EEEv13SSMParamsBase,comdat
.Lfunc_end4:
	.size	_Z26selective_scan_vllm_kernelI18SSMFwdKernelTraitsILi128ELi4ELi8ELb1ELb0ELb0EEEv13SSMParamsBase, .Lfunc_end4-_Z26selective_scan_vllm_kernelI18SSMFwdKernelTraitsILi128ELi4ELi8ELb1ELb0ELb0EEEv13SSMParamsBase
                                        ; -- End function
	.set _Z26selective_scan_vllm_kernelI18SSMFwdKernelTraitsILi128ELi4ELi8ELb1ELb0ELb0EEEv13SSMParamsBase.num_vgpr, 38
	.set _Z26selective_scan_vllm_kernelI18SSMFwdKernelTraitsILi128ELi4ELi8ELb1ELb0ELb0EEEv13SSMParamsBase.num_agpr, 0
	.set _Z26selective_scan_vllm_kernelI18SSMFwdKernelTraitsILi128ELi4ELi8ELb1ELb0ELb0EEEv13SSMParamsBase.numbered_sgpr, 81
	.set _Z26selective_scan_vllm_kernelI18SSMFwdKernelTraitsILi128ELi4ELi8ELb1ELb0ELb0EEEv13SSMParamsBase.num_named_barrier, 0
	.set _Z26selective_scan_vllm_kernelI18SSMFwdKernelTraitsILi128ELi4ELi8ELb1ELb0ELb0EEEv13SSMParamsBase.private_seg_size, 48
	.set _Z26selective_scan_vllm_kernelI18SSMFwdKernelTraitsILi128ELi4ELi8ELb1ELb0ELb0EEEv13SSMParamsBase.uses_vcc, 1
	.set _Z26selective_scan_vllm_kernelI18SSMFwdKernelTraitsILi128ELi4ELi8ELb1ELb0ELb0EEEv13SSMParamsBase.uses_flat_scratch, 0
	.set _Z26selective_scan_vllm_kernelI18SSMFwdKernelTraitsILi128ELi4ELi8ELb1ELb0ELb0EEEv13SSMParamsBase.has_dyn_sized_stack, 0
	.set _Z26selective_scan_vllm_kernelI18SSMFwdKernelTraitsILi128ELi4ELi8ELb1ELb0ELb0EEEv13SSMParamsBase.has_recursion, 0
	.set _Z26selective_scan_vllm_kernelI18SSMFwdKernelTraitsILi128ELi4ELi8ELb1ELb0ELb0EEEv13SSMParamsBase.has_indirect_call, 0
	.section	.AMDGPU.csdata,"",@progbits
; Kernel info:
; codeLenInByte = 3708
; TotalNumSgprs: 85
; NumVgprs: 38
; ScratchSize: 48
; MemoryBound: 0
; FloatMode: 240
; IeeeMode: 1
; LDSByteSize: 0 bytes/workgroup (compile time only)
; SGPRBlocks: 10
; VGPRBlocks: 9
; NumSGPRsForWavesPerEU: 85
; NumVGPRsForWavesPerEU: 38
; Occupancy: 6
; WaveLimiterHint : 0
; COMPUTE_PGM_RSRC2:SCRATCH_EN: 1
; COMPUTE_PGM_RSRC2:USER_SGPR: 6
; COMPUTE_PGM_RSRC2:TRAP_HANDLER: 0
; COMPUTE_PGM_RSRC2:TGID_X_EN: 1
; COMPUTE_PGM_RSRC2:TGID_Y_EN: 1
; COMPUTE_PGM_RSRC2:TGID_Z_EN: 0
; COMPUTE_PGM_RSRC2:TIDIG_COMP_CNT: 0
	.section	.text._Z26selective_scan_vllm_kernelI18SSMFwdKernelTraitsILi128ELi4ELi8ELb0ELb1ELb1EEEv13SSMParamsBase,"axG",@progbits,_Z26selective_scan_vllm_kernelI18SSMFwdKernelTraitsILi128ELi4ELi8ELb0ELb1ELb1EEEv13SSMParamsBase,comdat
	.protected	_Z26selective_scan_vllm_kernelI18SSMFwdKernelTraitsILi128ELi4ELi8ELb0ELb1ELb1EEEv13SSMParamsBase ; -- Begin function _Z26selective_scan_vllm_kernelI18SSMFwdKernelTraitsILi128ELi4ELi8ELb0ELb1ELb1EEEv13SSMParamsBase
	.globl	_Z26selective_scan_vllm_kernelI18SSMFwdKernelTraitsILi128ELi4ELi8ELb0ELb1ELb1EEEv13SSMParamsBase
	.p2align	8
	.type	_Z26selective_scan_vllm_kernelI18SSMFwdKernelTraitsILi128ELi4ELi8ELb0ELb1ELb1EEEv13SSMParamsBase,@function
_Z26selective_scan_vllm_kernelI18SSMFwdKernelTraitsILi128ELi4ELi8ELb0ELb1ELb1EEEv13SSMParamsBase: ; @_Z26selective_scan_vllm_kernelI18SSMFwdKernelTraitsILi128ELi4ELi8ELb0ELb1ELb1EEEv13SSMParamsBase
; %bb.0:
	s_load_dword s12, s[4:5], 0x4
	s_load_dword s33, s[4:5], 0x10
	s_load_dwordx8 s[44:51], s[4:5], 0x18
	s_add_u32 s0, s0, s8
	s_addc_u32 s1, s1, 0
	s_waitcnt lgkmcnt(0)
	s_abs_i32 s13, s12
	v_cvt_f32_u32_e32 v1, s13
	s_load_dwordx4 s[52:55], s[4:5], 0x38
	s_load_dwordx2 s[8:9], s[4:5], 0x48
	s_load_dwordx8 s[36:43], s[4:5], 0x58
	s_load_dwordx2 s[28:29], s[4:5], 0x88
	s_load_dwordx4 s[56:59], s[4:5], 0x78
	s_sub_i32 s4, 0, s13
	v_rcp_iflag_f32_e32 v1, v1
	s_abs_i32 s16, s6
	s_ashr_i32 s14, s6, 31
	s_ashr_i32 s15, s12, 31
	v_mul_f32_e32 v1, 0x4f7ffffe, v1
	v_cvt_u32_f32_e32 v1, v1
	s_mov_b32 s66, 0
	v_cmp_eq_u32_e64 s[34:35], 0, v0
	v_readfirstlane_b32 s5, v1
	s_mul_i32 s4, s4, s5
	s_mul_hi_u32 s4, s5, s4
	s_add_i32 s5, s5, s4
	s_mul_hi_u32 s17, s16, s5
	v_cmp_ne_u32_e64 s[4:5], 0, v0
	s_and_saveexec_b64 s[10:11], s[34:35]
; %bb.1:
	v_mov_b32_e32 v1, 0x7f
	v_mov_b32_e32 v2, 3
	;; [unrolled: 1-line block ×3, first 2 shown]
	ds_write_b64 v3, v[1:2] offset:36944
; %bb.2:
	s_or_b64 exec, exec, s[10:11]
	s_mul_i32 s11, s17, s13
	s_sub_i32 s11, s16, s11
	s_xor_b32 s10, s14, s15
	s_add_i32 s14, s17, 1
	s_sub_i32 s15, s11, s13
	s_cmp_ge_u32 s11, s13
	s_cselect_b32 s14, s14, s17
	s_cselect_b32 s11, s15, s11
	s_add_i32 s15, s14, 1
	s_cmp_ge_u32 s11, s13
	s_cselect_b32 s11, s15, s14
	s_xor_b32 s11, s11, s10
	s_sub_i32 s63, s11, s10
	s_mul_i32 s10, s63, s12
	s_sub_i32 s30, s6, s10
	s_waitcnt lgkmcnt(0)
	s_mul_i32 s10, s63, s56
	s_ashr_i32 s11, s10, 31
	s_lshl_b32 s62, s7, 9
	s_lshl_b64 s[60:61], s[10:11], 2
	s_add_u32 s12, s44, s60
	s_mul_i32 s10, s30, s57
	s_addc_u32 s13, s45, s61
	s_ashr_i32 s11, s10, 31
	s_lshl_b64 s[44:45], s[10:11], 2
	s_add_u32 s10, s12, s44
	s_addc_u32 s11, s13, s45
	v_lshlrev_b32_e32 v23, 2, v0
	s_add_u32 s12, s46, s60
	v_or_b32_e32 v1, s62, v23
	s_addc_u32 s13, s47, s61
	v_ashrrev_i32_e32 v2, 31, v1
	s_add_u32 s12, s12, s44
	v_lshlrev_b64 v[5:6], 2, v[1:2]
	s_addc_u32 s13, s13, s45
	v_mov_b32_e32 v1, s13
	v_add_co_u32_e32 v11, vcc, s12, v5
	v_addc_co_u32_e32 v12, vcc, v1, v6, vcc
	v_mov_b32_e32 v1, s11
	v_add_co_u32_e32 v13, vcc, s10, v5
	v_addc_co_u32_e32 v14, vcc, v1, v6, vcc
	s_barrier
	global_load_dwordx4 v[1:4], v[13:14], off
	global_load_dwordx4 v[7:10], v[11:12], off
	s_ashr_i32 s31, s30, 31
	s_lshl_b64 s[14:15], s[30:31], 2
	s_add_u32 s8, s8, s14
	s_addc_u32 s9, s9, s15
	s_load_dword s8, s[8:9], 0x0
	v_lshl_add_u32 v15, v0, 4, 0
	s_mov_b32 s12, 0x800000
	s_mov_b32 s17, 0x3f317217
	;; [unrolled: 1-line block ×3, first 2 shown]
	v_mov_b32_e32 v13, 0x41b17218
	s_mov_b32 s16, 0x41a00000
	v_add_u32_e32 v16, 0x810, v15
	v_mov_b32_e32 v14, 0
	ds_read_b64 v[11:12], v14 offset:36944
	s_mul_i32 s6, s6, s33
	v_cmp_gt_u32_e64 s[22:23], 2, v0
	v_cmp_lt_u32_e64 s[24:25], 63, v0
	s_mov_b32 s68, 0
	s_waitcnt vmcnt(1)
	ds_write2_b32 v15, v1, v2 offset0:4 offset1:5
	s_waitcnt vmcnt(0) lgkmcnt(0)
	v_add_f32_e32 v1, s8, v7
	v_add_f32_e32 v2, s8, v8
	;; [unrolled: 1-line block ×3, first 2 shown]
	v_mul_f32_e32 v9, 0x3fb8aa3b, v1
	v_add_f32_e32 v8, s8, v10
	v_mul_f32_e32 v10, 0x3fb8aa3b, v2
	v_exp_f32_e32 v9, v9
	v_mul_f32_e32 v17, 0x3fb8aa3b, v7
	v_exp_f32_e32 v10, v10
	v_exp_f32_e32 v17, v17
	v_mul_f32_e32 v18, 0x3fb8aa3b, v8
	v_add_f32_e32 v9, 1.0, v9
	v_exp_f32_e32 v18, v18
	v_add_f32_e32 v10, 1.0, v10
	v_cmp_gt_f32_e32 vcc, s12, v9
	v_add_f32_e32 v17, 1.0, v17
	v_cndmask_b32_e64 v19, 0, 32, vcc
	v_cmp_gt_f32_e64 s[8:9], s12, v10
	v_cndmask_b32_e64 v20, 0, 32, s[8:9]
	v_cmp_gt_f32_e64 s[10:11], s12, v17
	v_ldexp_f32 v9, v9, v19
	v_cndmask_b32_e64 v21, 0, 32, s[10:11]
	v_ldexp_f32 v10, v10, v20
	v_log_f32_e32 v9, v9
	v_add_f32_e32 v18, 1.0, v18
	v_ldexp_f32 v17, v17, v21
	v_log_f32_e32 v10, v10
	v_cmp_gt_f32_e64 s[12:13], s12, v18
	v_log_f32_e32 v17, v17
	v_cndmask_b32_e64 v22, 0, 32, s[12:13]
	v_ldexp_f32 v18, v18, v22
	v_mul_f32_e32 v22, 0x3f317217, v9
	v_mul_f32_e32 v24, 0x3f317217, v10
	v_fma_f32 v22, v9, s17, -v22
	v_mul_f32_e32 v25, 0x3f317217, v17
	v_fma_f32 v24, v10, s17, -v24
	v_fmac_f32_e32 v22, 0x3377d1cf, v9
	v_cndmask_b32_e32 v19, 0, v13, vcc
	v_fma_f32 v25, v17, s17, -v25
	v_fmac_f32_e32 v24, 0x3377d1cf, v10
	v_fmac_f32_e32 v22, 0x3f317217, v9
	v_cmp_lt_f32_e64 vcc, |v9|, s18
	v_fmac_f32_e32 v25, 0x3377d1cf, v17
	v_fmac_f32_e32 v24, 0x3f317217, v10
	v_cndmask_b32_e32 v9, v9, v22, vcc
	v_cmp_lt_f32_e64 vcc, |v10|, s18
	v_log_f32_e32 v18, v18
	v_fmac_f32_e32 v25, 0x3f317217, v17
	v_cndmask_b32_e32 v10, v10, v24, vcc
	v_cmp_lt_f32_e64 vcc, |v17|, s18
	v_cndmask_b32_e64 v20, 0, v13, s[8:9]
	v_cndmask_b32_e32 v17, v17, v25, vcc
	v_sub_f32_e32 v9, v9, v19
	v_cmp_lt_f32_e32 vcc, s16, v1
	v_sub_f32_e32 v10, v10, v20
	v_cndmask_b32_e32 v1, v9, v1, vcc
	v_cmp_lt_f32_e32 vcc, s16, v2
	v_cndmask_b32_e32 v2, v10, v2, vcc
	ds_write2_b32 v16, v1, v2 offset1:1
	v_mul_f32_e32 v2, 0x3f317217, v18
	v_cndmask_b32_e64 v21, 0, v13, s[10:11]
	v_fma_f32 v2, v18, s17, -v2
	v_sub_f32_e32 v17, v17, v21
	v_cmp_lt_f32_e32 vcc, s16, v7
	v_fmac_f32_e32 v2, 0x3377d1cf, v18
	v_cndmask_b32_e32 v1, v17, v7, vcc
	v_fmac_f32_e32 v2, 0x3f317217, v18
	v_cmp_lt_f32_e64 vcc, |v18|, s18
	v_cndmask_b32_e32 v2, v18, v2, vcc
	v_cndmask_b32_e64 v7, 0, v13, s[12:13]
	v_sub_f32_e32 v2, v2, v7
	v_cmp_lt_f32_e32 vcc, s16, v8
	s_add_u32 s8, s54, s14
	v_cndmask_b32_e32 v2, v2, v8, vcc
	s_addc_u32 s9, s55, s15
	v_add_u32_e32 v17, 0x818, v15
	ds_write2_b32 v15, v3, v4 offset0:6 offset1:7
	ds_write2_b32 v17, v1, v2 offset1:1
	s_waitcnt lgkmcnt(0)
	s_barrier
	s_load_dword s8, s[8:9], 0x0
	ds_read2_b32 v[1:2], v15 offset0:4 offset1:5
	ds_read2_b32 v[3:4], v15 offset0:6 offset1:7
	v_mbcnt_lo_u32_b32 v7, -1, 0
	v_mbcnt_hi_u32_b32 v7, -1, v7
	v_and_b32_e32 v8, 15, v7
	s_waitcnt lgkmcnt(0)
	v_mul_f32_e32 v1, s8, v1
	v_mul_f32_e32 v2, s8, v2
	;; [unrolled: 1-line block ×4, first 2 shown]
	v_cmp_ne_u32_e64 s[8:9], 0, v8
	v_cmp_lt_u32_e64 s[10:11], 1, v8
	v_cmp_lt_u32_e64 s[12:13], 3, v8
	v_cmp_lt_u32_e64 s[14:15], 7, v8
	v_and_b32_e32 v8, 16, v7
	v_cmp_ne_u32_e64 s[16:17], 0, v8
	v_or_b32_e32 v8, 63, v0
	v_cmp_eq_u32_e64 s[20:21], v0, v8
	v_subrev_co_u32_e64 v8, s[26:27], 1, v7
	v_and_b32_e32 v9, 64, v7
	s_lshl_b32 s54, s30, 3
	v_cmp_lt_i32_e32 vcc, v8, v9
	s_mul_i32 s55, s63, s58
	v_cmp_lt_u32_e64 s[18:19], 31, v7
	v_cndmask_b32_e32 v8, v8, v7, vcc
	s_cmp_lg_u32 s7, 0
	v_and_b32_e32 v7, 1, v7
	v_lshlrev_b32_e32 v18, 2, v8
	s_cselect_b64 s[46:47], -1, 0
	s_mul_i32 s63, s63, s28
	s_mul_i32 s58, s30, s29
	v_lshrrev_b32_e32 v8, 3, v0
	v_cmp_eq_u32_e64 s[28:29], 0, v7
	v_lshlrev_b32_e32 v7, 3, v12
	s_add_i32 s55, s55, s62
	v_and_b32_e32 v8, 8, v8
	v_mov_b32_e32 v21, v7
	v_add_u32_e32 v7, s55, v23
	s_ashr_i32 s55, s54, 31
	s_add_i32 s58, s58, s63
	v_add_u32_e32 v19, 0, v8
	v_lshlrev_b32_e32 v8, 3, v0
	s_ashr_i32 s67, s7, 31
	s_lshl_b32 s6, s6, 3
	s_lshl_b64 s[54:55], s[54:55], 2
	v_sub_u32_e32 v8, 0, v8
	s_add_u32 s48, s48, s54
	v_add_u32_e32 v20, -8, v19
	v_cmp_eq_u32_e64 s[30:31], v0, v11
	v_add_u32_e32 v22, 0x1010, v15
	s_addc_u32 s49, s49, s55
	v_add_u32_e32 v23, v15, v8
	s_mov_b32 s54, s58
	s_branch .LBB5_4
.LBB5_3:                                ;   in Loop: Header=BB5_4 Depth=1
	s_or_b64 exec, exec, s[56:57]
	s_addk_i32 s68, 0x800
	s_add_i32 s66, s66, 4
	s_add_i32 s54, s54, 1
	;; [unrolled: 1-line block ×3, first 2 shown]
	s_add_u32 s48, s48, 4
	v_fmac_f32_e32 v25, v9, v31
	v_fmac_f32_e32 v32, v9, v26
	;; [unrolled: 1-line block ×4, first 2 shown]
	s_addc_u32 s49, s49, 0
	s_waitcnt lgkmcnt(1)
	v_fmac_f32_e32 v1, v12, v25
	v_fmac_f32_e32 v2, v13, v32
	s_waitcnt lgkmcnt(0)
	v_fmac_f32_e32 v3, v10, v30
	v_fmac_f32_e32 v4, v11, v29
	s_cmpk_eq_i32 s68, 0x4000
	v_add_u32_e32 v7, s59, v7
	s_waitcnt vmcnt(0)
	s_barrier
	s_cbranch_scc1 .LBB5_32
.LBB5_4:                                ; =>This Inner Loop Header: Depth=1
	s_and_saveexec_b64 s[56:57], s[34:35]
	s_cbranch_execz .LBB5_9
; %bb.5:                                ;   in Loop: Header=BB5_4 Depth=1
	s_and_b64 vcc, exec, s[46:47]
	s_cbranch_vccz .LBB5_31
; %bb.6:                                ;   in Loop: Header=BB5_4 Depth=1
	s_ashr_i32 s55, s6, 31
	s_add_u32 s62, s7, s6
	s_addc_u32 s63, s67, s55
	s_lshl_b64 s[62:63], s[62:63], 2
	s_add_u32 s64, s40, s62
	s_addc_u32 s65, s41, s63
	global_load_dword v8, v14, s[64:65] offset:-4
	s_add_u32 s55, s42, s62
	s_addc_u32 s63, s43, s63
	s_add_u32 s62, s55, -4
	s_addc_u32 s63, s63, -1
	s_cbranch_execnz .LBB5_8
.LBB5_7:                                ;   in Loop: Header=BB5_4 Depth=1
	s_ashr_i32 s55, s54, 31
	s_lshl_b64 s[62:63], s[54:55], 2
	s_add_u32 s62, s36, s62
	s_addc_u32 s63, s37, s63
	s_waitcnt vmcnt(0)
	v_mov_b32_e32 v8, 1.0
.LBB5_8:                                ;   in Loop: Header=BB5_4 Depth=1
	global_load_dword v9, v14, s[62:63]
	v_mov_b32_e32 v10, s66
	v_add_u32_e32 v10, 0x9000, v10
	s_waitcnt vmcnt(0)
	ds_write2_b32 v10, v8, v9 offset0:4 offset1:12
.LBB5_9:                                ;   in Loop: Header=BB5_4 Depth=1
	s_or_b64 exec, exec, s[56:57]
	v_ashrrev_i32_e32 v8, 31, v7
	v_lshlrev_b64 v[12:13], 2, v[7:8]
	v_mov_b32_e32 v9, s51
	v_add_co_u32_e32 v8, vcc, s50, v12
	v_addc_co_u32_e32 v9, vcc, v9, v13, vcc
	v_mov_b32_e32 v24, s53
	v_add_co_u32_e32 v12, vcc, s52, v12
	global_load_dwordx4 v[8:11], v[8:9], off
	v_addc_co_u32_e32 v13, vcc, v24, v13, vcc
	global_load_dwordx4 v[25:28], v[12:13], off
	v_add_u32_e32 v13, s68, v22
	v_add_u32_e32 v12, 0x4000, v13
	;; [unrolled: 1-line block ×3, first 2 shown]
	s_waitcnt vmcnt(1)
	ds_write2_b32 v13, v8, v9 offset1:1
	s_waitcnt vmcnt(0)
	ds_write2_b32 v12, v25, v26 offset1:1
	ds_write2_b32 v13, v10, v11 offset0:2 offset1:3
	ds_write2_b32 v24, v27, v28 offset1:1
	s_waitcnt lgkmcnt(0)
	s_barrier
	global_load_dword v35, v14, s[48:49]
	v_mov_b32_e32 v8, s66
	v_add_u32_e32 v8, 0x9000, v8
	ds_read2_b32 v[10:11], v16 offset1:1
	ds_read2_b32 v[25:26], v13 offset1:1
	ds_read2_b32 v[27:28], v13 offset0:2 offset1:3
	ds_read2_b32 v[29:30], v17 offset1:1
	ds_read2_b32 v[31:32], v15 offset0:4 offset1:5
	ds_read2_b32 v[33:34], v15 offset0:6 offset1:7
	;; [unrolled: 1-line block ×3, first 2 shown]
	s_waitcnt lgkmcnt(5)
	v_mul_f32_e32 v13, v10, v25
	v_mul_f32_e32 v26, v11, v26
	s_waitcnt lgkmcnt(3)
	v_mul_f32_e32 v27, v29, v27
	s_waitcnt lgkmcnt(2)
	v_mul_f32_e32 v25, v31, v13
	v_mul_f32_e32 v13, v32, v26
	s_waitcnt lgkmcnt(1)
	v_mul_f32_e32 v33, v33, v27
	v_mul_f32_e32 v28, v30, v28
	;; [unrolled: 1-line block ×3, first 2 shown]
	s_waitcnt vmcnt(0)
	v_mul_f32_e32 v10, v10, v35
	v_mul_f32_e32 v11, v11, v35
	;; [unrolled: 1-line block ×7, first 2 shown]
	v_exp_f32_e32 v31, v10
	v_exp_f32_e32 v37, v11
	v_mul_f32_e32 v10, 0x3fb8aa3b, v27
	v_exp_f32_e32 v36, v26
	v_exp_f32_e32 v35, v10
	v_mul_f32_e32 v26, v31, v37
	v_fma_f32 v32, v25, v37, v13
	v_mul_f32_e32 v27, v26, v36
	v_fma_f32 v30, v32, v36, v33
	;; [unrolled: 2-line block ×3, first 2 shown]
	v_mov_b32_e32 v38, v29
	v_mov_b32_dpp v11, v28 row_shr:1 row_mask:0xf bank_mask:0xf
	v_mov_b32_dpp v10, v29 row_shr:1 row_mask:0xf bank_mask:0xf
	v_mov_b32_e32 v39, v28
	s_and_saveexec_b64 s[56:57], s[8:9]
; %bb.10:                               ;   in Loop: Header=BB5_4 Depth=1
	v_mov_b32_e32 v38, v29
	v_mul_f32_e32 v39, v28, v11
	v_fmac_f32_e32 v38, v28, v10
; %bb.11:                               ;   in Loop: Header=BB5_4 Depth=1
	s_or_b64 exec, exec, s[56:57]
	v_mov_b32_dpp v11, v39 row_shr:2 row_mask:0xf bank_mask:0xf
	v_mov_b32_dpp v10, v38 row_shr:2 row_mask:0xf bank_mask:0xf
	s_and_saveexec_b64 s[56:57], s[10:11]
; %bb.12:                               ;   in Loop: Header=BB5_4 Depth=1
	v_mul_f32_e32 v11, v39, v11
	v_fmac_f32_e32 v38, v39, v10
	v_mov_b32_e32 v39, v11
; %bb.13:                               ;   in Loop: Header=BB5_4 Depth=1
	s_or_b64 exec, exec, s[56:57]
	s_nop 0
	v_mov_b32_dpp v11, v39 row_shr:4 row_mask:0xf bank_mask:0xf
	v_mov_b32_dpp v10, v38 row_shr:4 row_mask:0xf bank_mask:0xf
	s_and_saveexec_b64 s[56:57], s[12:13]
; %bb.14:                               ;   in Loop: Header=BB5_4 Depth=1
	v_mul_f32_e32 v11, v39, v11
	v_fmac_f32_e32 v38, v39, v10
	v_mov_b32_e32 v39, v11
; %bb.15:                               ;   in Loop: Header=BB5_4 Depth=1
	s_or_b64 exec, exec, s[56:57]
	s_nop 0
	;; [unrolled: 10-line block ×3, first 2 shown]
	v_mov_b32_dpp v11, v39 row_bcast:15 row_mask:0xf bank_mask:0xf
	v_mov_b32_dpp v10, v38 row_bcast:15 row_mask:0xf bank_mask:0xf
	s_and_saveexec_b64 s[56:57], s[16:17]
; %bb.18:                               ;   in Loop: Header=BB5_4 Depth=1
	v_mul_f32_e32 v11, v39, v11
	v_fmac_f32_e32 v38, v39, v10
	v_mov_b32_e32 v39, v11
; %bb.19:                               ;   in Loop: Header=BB5_4 Depth=1
	s_or_b64 exec, exec, s[56:57]
	s_nop 0
	v_mov_b32_dpp v10, v39 row_bcast:31 row_mask:0xf bank_mask:0xf
	v_mov_b32_dpp v11, v38 row_bcast:31 row_mask:0xf bank_mask:0xf
	s_and_saveexec_b64 s[56:57], s[18:19]
; %bb.20:                               ;   in Loop: Header=BB5_4 Depth=1
	v_fmac_f32_e32 v38, v39, v11
	v_mul_f32_e32 v39, v39, v10
; %bb.21:                               ;   in Loop: Header=BB5_4 Depth=1
	s_or_b64 exec, exec, s[56:57]
	s_and_saveexec_b64 s[56:57], s[20:21]
; %bb.22:                               ;   in Loop: Header=BB5_4 Depth=1
	ds_write2_b32 v19, v39, v38 offset1:1
; %bb.23:                               ;   in Loop: Header=BB5_4 Depth=1
	s_or_b64 exec, exec, s[56:57]
	s_waitcnt lgkmcnt(0)
	s_barrier
	s_and_saveexec_b64 s[56:57], s[22:23]
	s_cbranch_execz .LBB5_25
; %bb.24:                               ;   in Loop: Header=BB5_4 Depth=1
	ds_read2_b32 v[10:11], v23 offset1:1
	s_waitcnt lgkmcnt(0)
	s_nop 0
	v_mov_b32_dpp v40, v10 row_shr:1 row_mask:0xf bank_mask:0xf
	v_mov_b32_dpp v41, v11 row_shr:1 row_mask:0xf bank_mask:0xf
	v_fma_f32 v41, v10, v41, v11
	v_mul_f32_e32 v40, v10, v40
	v_cndmask_b32_e64 v10, v40, v10, s[28:29]
	v_cndmask_b32_e64 v11, v41, v11, s[28:29]
	ds_write2_b32 v23, v10, v11 offset1:1
.LBB5_25:                               ;   in Loop: Header=BB5_4 Depth=1
	s_or_b64 exec, exec, s[56:57]
	s_waitcnt lgkmcnt(0)
	s_barrier
                                        ; implicit-def: $vgpr11
	s_and_saveexec_b64 s[56:57], s[24:25]
	s_cbranch_execz .LBB5_27
; %bb.26:                               ;   in Loop: Header=BB5_4 Depth=1
	ds_read2_b32 v[10:11], v20 offset1:1
	s_waitcnt lgkmcnt(0)
	v_mul_f32_e32 v40, v39, v10
	v_fmac_f32_e32 v38, v39, v11
	v_mov_b32_e32 v39, v40
.LBB5_27:                               ;   in Loop: Header=BB5_4 Depth=1
	s_or_b64 exec, exec, s[56:57]
	ds_bpermute_b32 v39, v18, v39
	ds_bpermute_b32 v38, v18, v38
	s_and_saveexec_b64 s[56:57], s[4:5]
	s_cbranch_execz .LBB5_29
; %bb.28:                               ;   in Loop: Header=BB5_4 Depth=1
	s_waitcnt lgkmcnt(0)
	v_cndmask_b32_e64 v11, v38, v11, s[26:27]
	v_cndmask_b32_e64 v10, v39, v10, s[26:27]
	v_fmac_f32_e32 v25, v31, v11
	v_mul_f32_e32 v10, v31, v10
	v_fmac_f32_e32 v13, v25, v37
	v_mul_f32_e32 v26, v10, v37
	;; [unrolled: 2-line block ×4, first 2 shown]
	v_mov_b32_e32 v29, v34
	v_mov_b32_e32 v30, v33
	v_mov_b32_e32 v32, v13
	v_mov_b32_e32 v31, v10
	;;#ASMSTART
	;;#ASMEND
.LBB5_29:                               ;   in Loop: Header=BB5_4 Depth=1
	s_or_b64 exec, exec, s[56:57]
	buffer_store_dword v31, off, s[0:3], 0
	buffer_store_dword v25, off, s[0:3], 0 offset:4
	buffer_store_dword v26, off, s[0:3], 0 offset:8
	;; [unrolled: 1-line block ×7, first 2 shown]
	s_waitcnt vmcnt(0) lgkmcnt(0)
	s_barrier
	ds_read2_b32 v[12:13], v12 offset1:1
	ds_read2_b32 v[10:11], v24 offset1:1
	s_and_saveexec_b64 s[56:57], s[30:31]
	s_cbranch_execz .LBB5_3
; %bb.30:                               ;   in Loop: Header=BB5_4 Depth=1
	buffer_load_dword v24, v21, s[0:3], 0 offen
	buffer_load_dword v33, v21, s[0:3], 0 offen offset:4
	s_add_i32 s62, s7, s6
	s_ashr_i32 s63, s62, 31
	s_lshl_b64 s[62:63], s[62:63], 2
	s_add_u32 s64, s40, s62
	v_mov_b32_e32 v34, s66
	s_addc_u32 s65, s41, s63
	v_add_u32_e32 v34, 0x9000, v34
	s_add_u32 s62, s42, s62
	s_addc_u32 s63, s43, s63
	s_waitcnt vmcnt(1)
	v_mul_f32_e32 v8, v8, v24
	s_waitcnt vmcnt(0)
	v_fmac_f32_e32 v33, v9, v24
	global_store_dword v14, v8, s[64:65]
	global_store_dword v14, v33, s[62:63]
	ds_write2_b32 v34, v8, v33 offset0:4 offset1:12
	s_branch .LBB5_3
.LBB5_31:                               ;   in Loop: Header=BB5_4 Depth=1
                                        ; implicit-def: $sgpr62_sgpr63
                                        ; implicit-def: $vgpr8
	s_branch .LBB5_7
.LBB5_32:
	s_add_u32 s4, s38, s60
	s_addc_u32 s5, s39, s61
	s_add_u32 s4, s4, s44
	s_addc_u32 s5, s5, s45
	v_mov_b32_e32 v7, s5
	v_add_co_u32_e32 v5, vcc, s4, v5
	s_add_i32 s33, s33, -1
	v_addc_co_u32_e32 v6, vcc, v7, v6, vcc
	s_cmp_eq_u32 s7, s33
	s_cselect_b64 s[4:5], -1, 0
	v_cmp_gt_u32_e32 vcc, 8, v0
	s_and_b64 s[4:5], s[4:5], vcc
	global_store_dwordx4 v[5:6], v[1:4], off
	s_and_saveexec_b64 s[6:7], s[4:5]
	s_cbranch_execz .LBB5_34
; %bb.33:
	v_lshl_add_u32 v1, v0, 2, 0
	v_add_u32_e32 v0, s58, v0
	ds_read_b32 v2, v1 offset:36912
	v_ashrrev_i32_e32 v1, 31, v0
	v_lshlrev_b64 v[0:1], 2, v[0:1]
	v_mov_b32_e32 v3, s37
	v_add_co_u32_e32 v0, vcc, s36, v0
	v_addc_co_u32_e32 v1, vcc, v3, v1, vcc
	s_waitcnt lgkmcnt(0)
	global_store_dword v[0:1], v2, off
.LBB5_34:
	s_endpgm
	.section	.rodata,"a",@progbits
	.p2align	6, 0x0
	.amdhsa_kernel _Z26selective_scan_vllm_kernelI18SSMFwdKernelTraitsILi128ELi4ELi8ELb0ELb1ELb1EEEv13SSMParamsBase
		.amdhsa_group_segment_fixed_size 0
		.amdhsa_private_segment_fixed_size 48
		.amdhsa_kernarg_size 144
		.amdhsa_user_sgpr_count 6
		.amdhsa_user_sgpr_private_segment_buffer 1
		.amdhsa_user_sgpr_dispatch_ptr 0
		.amdhsa_user_sgpr_queue_ptr 0
		.amdhsa_user_sgpr_kernarg_segment_ptr 1
		.amdhsa_user_sgpr_dispatch_id 0
		.amdhsa_user_sgpr_flat_scratch_init 0
		.amdhsa_user_sgpr_private_segment_size 0
		.amdhsa_uses_dynamic_stack 0
		.amdhsa_system_sgpr_private_segment_wavefront_offset 1
		.amdhsa_system_sgpr_workgroup_id_x 1
		.amdhsa_system_sgpr_workgroup_id_y 1
		.amdhsa_system_sgpr_workgroup_id_z 0
		.amdhsa_system_sgpr_workgroup_info 0
		.amdhsa_system_vgpr_workitem_id 0
		.amdhsa_next_free_vgpr 42
		.amdhsa_next_free_sgpr 69
		.amdhsa_reserve_vcc 1
		.amdhsa_reserve_flat_scratch 0
		.amdhsa_float_round_mode_32 0
		.amdhsa_float_round_mode_16_64 0
		.amdhsa_float_denorm_mode_32 3
		.amdhsa_float_denorm_mode_16_64 3
		.amdhsa_dx10_clamp 1
		.amdhsa_ieee_mode 1
		.amdhsa_fp16_overflow 0
		.amdhsa_exception_fp_ieee_invalid_op 0
		.amdhsa_exception_fp_denorm_src 0
		.amdhsa_exception_fp_ieee_div_zero 0
		.amdhsa_exception_fp_ieee_overflow 0
		.amdhsa_exception_fp_ieee_underflow 0
		.amdhsa_exception_fp_ieee_inexact 0
		.amdhsa_exception_int_div_zero 0
	.end_amdhsa_kernel
	.section	.text._Z26selective_scan_vllm_kernelI18SSMFwdKernelTraitsILi128ELi4ELi8ELb0ELb1ELb1EEEv13SSMParamsBase,"axG",@progbits,_Z26selective_scan_vllm_kernelI18SSMFwdKernelTraitsILi128ELi4ELi8ELb0ELb1ELb1EEEv13SSMParamsBase,comdat
.Lfunc_end5:
	.size	_Z26selective_scan_vllm_kernelI18SSMFwdKernelTraitsILi128ELi4ELi8ELb0ELb1ELb1EEEv13SSMParamsBase, .Lfunc_end5-_Z26selective_scan_vllm_kernelI18SSMFwdKernelTraitsILi128ELi4ELi8ELb0ELb1ELb1EEEv13SSMParamsBase
                                        ; -- End function
	.set _Z26selective_scan_vllm_kernelI18SSMFwdKernelTraitsILi128ELi4ELi8ELb0ELb1ELb1EEEv13SSMParamsBase.num_vgpr, 42
	.set _Z26selective_scan_vllm_kernelI18SSMFwdKernelTraitsILi128ELi4ELi8ELb0ELb1ELb1EEEv13SSMParamsBase.num_agpr, 0
	.set _Z26selective_scan_vllm_kernelI18SSMFwdKernelTraitsILi128ELi4ELi8ELb0ELb1ELb1EEEv13SSMParamsBase.numbered_sgpr, 69
	.set _Z26selective_scan_vllm_kernelI18SSMFwdKernelTraitsILi128ELi4ELi8ELb0ELb1ELb1EEEv13SSMParamsBase.num_named_barrier, 0
	.set _Z26selective_scan_vllm_kernelI18SSMFwdKernelTraitsILi128ELi4ELi8ELb0ELb1ELb1EEEv13SSMParamsBase.private_seg_size, 48
	.set _Z26selective_scan_vllm_kernelI18SSMFwdKernelTraitsILi128ELi4ELi8ELb0ELb1ELb1EEEv13SSMParamsBase.uses_vcc, 1
	.set _Z26selective_scan_vllm_kernelI18SSMFwdKernelTraitsILi128ELi4ELi8ELb0ELb1ELb1EEEv13SSMParamsBase.uses_flat_scratch, 0
	.set _Z26selective_scan_vllm_kernelI18SSMFwdKernelTraitsILi128ELi4ELi8ELb0ELb1ELb1EEEv13SSMParamsBase.has_dyn_sized_stack, 0
	.set _Z26selective_scan_vllm_kernelI18SSMFwdKernelTraitsILi128ELi4ELi8ELb0ELb1ELb1EEEv13SSMParamsBase.has_recursion, 0
	.set _Z26selective_scan_vllm_kernelI18SSMFwdKernelTraitsILi128ELi4ELi8ELb0ELb1ELb1EEEv13SSMParamsBase.has_indirect_call, 0
	.section	.AMDGPU.csdata,"",@progbits
; Kernel info:
; codeLenInByte = 2648
; TotalNumSgprs: 73
; NumVgprs: 42
; ScratchSize: 48
; MemoryBound: 0
; FloatMode: 240
; IeeeMode: 1
; LDSByteSize: 0 bytes/workgroup (compile time only)
; SGPRBlocks: 9
; VGPRBlocks: 10
; NumSGPRsForWavesPerEU: 73
; NumVGPRsForWavesPerEU: 42
; Occupancy: 5
; WaveLimiterHint : 0
; COMPUTE_PGM_RSRC2:SCRATCH_EN: 1
; COMPUTE_PGM_RSRC2:USER_SGPR: 6
; COMPUTE_PGM_RSRC2:TRAP_HANDLER: 0
; COMPUTE_PGM_RSRC2:TGID_X_EN: 1
; COMPUTE_PGM_RSRC2:TGID_Y_EN: 1
; COMPUTE_PGM_RSRC2:TGID_Z_EN: 0
; COMPUTE_PGM_RSRC2:TIDIG_COMP_CNT: 0
	.section	.text._Z26selective_scan_vllm_kernelI18SSMFwdKernelTraitsILi128ELi4ELi8ELb0ELb1ELb0EEEv13SSMParamsBase,"axG",@progbits,_Z26selective_scan_vllm_kernelI18SSMFwdKernelTraitsILi128ELi4ELi8ELb0ELb1ELb0EEEv13SSMParamsBase,comdat
	.protected	_Z26selective_scan_vllm_kernelI18SSMFwdKernelTraitsILi128ELi4ELi8ELb0ELb1ELb0EEEv13SSMParamsBase ; -- Begin function _Z26selective_scan_vllm_kernelI18SSMFwdKernelTraitsILi128ELi4ELi8ELb0ELb1ELb0EEEv13SSMParamsBase
	.globl	_Z26selective_scan_vllm_kernelI18SSMFwdKernelTraitsILi128ELi4ELi8ELb0ELb1ELb0EEEv13SSMParamsBase
	.p2align	8
	.type	_Z26selective_scan_vllm_kernelI18SSMFwdKernelTraitsILi128ELi4ELi8ELb0ELb1ELb0EEEv13SSMParamsBase,@function
_Z26selective_scan_vllm_kernelI18SSMFwdKernelTraitsILi128ELi4ELi8ELb0ELb1ELb0EEEv13SSMParamsBase: ; @_Z26selective_scan_vllm_kernelI18SSMFwdKernelTraitsILi128ELi4ELi8ELb0ELb1ELb0EEEv13SSMParamsBase
; %bb.0:
	s_load_dwordx2 s[18:19], s[4:5], 0x4
	s_add_u32 s0, s0, s8
	s_addc_u32 s1, s1, 0
	s_load_dwordx8 s[48:55], s[4:5], 0x18
	s_load_dwordx4 s[64:67], s[4:5], 0x38
	s_load_dwordx2 s[8:9], s[4:5], 0x48
	s_load_dwordx2 s[40:41], s[4:5], 0x88
	s_load_dwordx4 s[68:71], s[4:5], 0x78
	s_waitcnt lgkmcnt(0)
	s_abs_i32 s13, s18
	v_cvt_f32_u32_e32 v1, s13
	s_sub_i32 s10, 0, s13
	s_abs_i32 s14, s6
	s_ashr_i32 s15, s6, 31
	v_rcp_iflag_f32_e32 v1, v1
	s_lshl_b32 s12, s7, 9
	s_ashr_i32 s16, s18, 31
	v_cmp_ne_u32_e64 s[44:45], 0, v0
	v_mul_f32_e32 v1, 0x4f7ffffe, v1
	v_cvt_u32_f32_e32 v1, v1
	v_cmp_eq_u32_e64 s[46:47], 0, v0
	v_readfirstlane_b32 s11, v1
	s_mul_i32 s10, s10, s11
	s_mul_hi_u32 s10, s11, s10
	s_add_i32 s11, s11, s10
	s_mul_hi_u32 s17, s14, s11
	s_and_saveexec_b64 s[10:11], s[46:47]
	s_cbranch_execz .LBB6_2
; %bb.1:
	s_add_i32 s20, s12, 0x200
	s_min_i32 s20, s20, s19
	s_not_b32 s21, s12
	s_add_i32 s20, s20, s21
	s_ashr_i32 s21, s20, 31
	s_lshr_b32 s21, s21, 30
	s_add_i32 s21, s20, s21
	s_ashr_i32 s22, s21, 2
	s_and_b32 s21, s21, -4
	s_sub_i32 s20, s20, s21
	v_mov_b32_e32 v1, s22
	v_mov_b32_e32 v2, s20
	;; [unrolled: 1-line block ×3, first 2 shown]
	ds_write_b64 v3, v[1:2] offset:36944
.LBB6_2:
	s_or_b64 exec, exec, s[10:11]
	s_mul_i32 s11, s17, s13
	s_sub_i32 s11, s14, s11
	s_xor_b32 s10, s15, s16
	s_add_i32 s14, s17, 1
	s_sub_i32 s15, s11, s13
	s_cmp_ge_u32 s11, s13
	s_cselect_b32 s14, s14, s17
	s_cselect_b32 s11, s15, s11
	s_add_i32 s15, s14, 1
	s_cmp_ge_u32 s11, s13
	s_cselect_b32 s11, s15, s14
	s_xor_b32 s11, s11, s10
	s_sub_i32 s74, s11, s10
	s_mul_i32 s10, s74, s18
	s_sub_i32 s42, s6, s10
	s_mul_i32 s10, s74, s68
	s_ashr_i32 s11, s10, 31
	s_lshl_b64 s[72:73], s[10:11], 2
	s_add_u32 s13, s48, s72
	s_mul_i32 s10, s42, s69
	s_addc_u32 s14, s49, s73
	s_ashr_i32 s11, s10, 31
	s_lshl_b64 s[48:49], s[10:11], 2
	v_mov_b32_e32 v7, 0
	s_add_u32 s18, s13, s48
	s_waitcnt lgkmcnt(0)
	s_barrier
	ds_read_b64 v[3:4], v7 offset:36944
	s_addc_u32 s26, s14, s49
	s_ashr_i32 s43, s42, 31
	v_lshlrev_b32_e32 v5, 2, v0
	s_lshl_b64 s[20:21], s[42:43], 2
	v_add_u32_e32 v1, s12, v5
	s_add_u32 s12, s8, s20
	s_addc_u32 s13, s9, s21
	v_cmp_le_i32_e64 s[10:11], s19, v1
	v_cmp_gt_i32_e64 s[8:9], s19, v1
	v_ashrrev_i32_e32 v2, 31, v1
	v_mov_b32_e32 v6, 0
	s_and_saveexec_b64 s[14:15], s[8:9]
	s_cbranch_execz .LBB6_4
; %bb.3:
	v_lshlrev_b64 v[8:9], 2, v[1:2]
	v_mov_b32_e32 v6, s26
	v_add_co_u32_e32 v8, vcc, s18, v8
	v_addc_co_u32_e32 v9, vcc, v6, v9, vcc
	global_load_dword v6, v[8:9], off
.LBB6_4:
	s_or_b64 exec, exec, s[14:15]
	s_load_dword s24, s[12:13], 0x0
	s_add_u32 s12, s50, s72
	s_addc_u32 s13, s51, s73
	s_add_u32 s25, s12, s48
	s_addc_u32 s27, s13, s49
	s_and_saveexec_b64 s[12:13], s[8:9]
	s_cbranch_execz .LBB6_6
; %bb.5:
	v_lshlrev_b64 v[7:8], 2, v[1:2]
	v_mov_b32_e32 v9, s27
	v_add_co_u32_e32 v7, vcc, s25, v7
	v_addc_co_u32_e32 v8, vcc, v9, v8, vcc
	global_load_dword v7, v[7:8], off
.LBB6_6:
	s_or_b64 exec, exec, s[12:13]
	s_waitcnt vmcnt(0) lgkmcnt(0)
	v_add_f32_e32 v8, s24, v7
	v_mul_f32_e32 v7, 0x3fb8aa3b, v8
	v_exp_f32_e32 v7, v7
	s_mov_b32 s12, 0x800000
	s_mov_b32 s13, 0x7f800000
	v_mov_b32_e32 v10, 0x41b17218
	v_add_f32_e32 v7, 1.0, v7
	v_cmp_gt_f32_e32 vcc, s12, v7
	v_cndmask_b32_e64 v9, 0, 32, vcc
	v_ldexp_f32 v7, v7, v9
	v_log_f32_e32 v7, v7
	s_mov_b32 s12, 0x3f317217
	s_mov_b32 s14, 0x41a00000
	v_cndmask_b32_e32 v10, 0, v10, vcc
	v_mul_f32_e32 v9, 0x3f317217, v7
	v_fma_f32 v9, v7, s12, -v9
	v_fmac_f32_e32 v9, 0x3377d1cf, v7
	v_fmac_f32_e32 v9, 0x3f317217, v7
	v_cmp_lt_f32_e64 s[12:13], |v7|, s13
	v_cndmask_b32_e64 v9, v7, v9, s[12:13]
	v_sub_f32_e32 v9, v9, v10
	v_cmp_lt_f32_e32 vcc, s14, v8
	v_cndmask_b32_e32 v8, v9, v8, vcc
	v_lshl_add_u32 v9, v5, 2, 0
	v_add_u32_e32 v5, 16, v9
	ds_write2st64_b32 v5, v6, v8 offset1:8
	v_or_b32_e32 v5, 1, v1
	v_mov_b32_e32 v7, 0
	v_cmp_gt_i32_e64 s[12:13], s19, v5
	v_mov_b32_e32 v5, 0
	s_and_saveexec_b64 s[14:15], s[12:13]
	s_cbranch_execz .LBB6_8
; %bb.7:
	v_lshlrev_b64 v[5:6], 2, v[1:2]
	v_mov_b32_e32 v8, s26
	v_add_co_u32_e32 v5, vcc, s18, v5
	v_addc_co_u32_e32 v6, vcc, v8, v6, vcc
	global_load_dword v5, v[5:6], off offset:4
.LBB6_8:
	s_or_b64 exec, exec, s[14:15]
	s_and_saveexec_b64 s[14:15], s[12:13]
	s_cbranch_execz .LBB6_10
; %bb.9:
	v_lshlrev_b64 v[6:7], 2, v[1:2]
	v_mov_b32_e32 v8, s27
	v_add_co_u32_e32 v6, vcc, s25, v6
	v_addc_co_u32_e32 v7, vcc, v8, v7, vcc
	global_load_dword v7, v[6:7], off offset:4
.LBB6_10:
	s_or_b64 exec, exec, s[14:15]
	s_waitcnt vmcnt(0)
	v_add_f32_e32 v6, s24, v7
	v_mul_f32_e32 v7, 0x3fb8aa3b, v6
	v_exp_f32_e32 v7, v7
	s_mov_b32 s14, 0x800000
	s_mov_b32 s15, 0x7f800000
	v_mov_b32_e32 v10, 0x41b17218
	v_add_f32_e32 v7, 1.0, v7
	v_cmp_gt_f32_e32 vcc, s14, v7
	v_cndmask_b32_e64 v8, 0, 32, vcc
	v_ldexp_f32 v7, v7, v8
	v_log_f32_e32 v7, v7
	s_mov_b32 s14, 0x3f317217
	s_mov_b32 s16, 0x41a00000
	v_cndmask_b32_e32 v10, 0, v10, vcc
	v_mul_f32_e32 v8, 0x3f317217, v7
	v_fma_f32 v8, v7, s14, -v8
	v_fmac_f32_e32 v8, 0x3377d1cf, v7
	v_fmac_f32_e32 v8, 0x3f317217, v7
	v_cmp_lt_f32_e64 s[14:15], |v7|, s15
	v_cndmask_b32_e64 v8, v7, v8, s[14:15]
	v_sub_f32_e32 v8, v8, v10
	v_cmp_lt_f32_e32 vcc, s16, v6
	v_cndmask_b32_e32 v6, v8, v6, vcc
	v_add_u32_e32 v8, 20, v9
	ds_write2st64_b32 v8, v5, v6 offset1:8
	v_or_b32_e32 v5, 2, v1
	v_mov_b32_e32 v7, 0
	v_cmp_gt_i32_e64 s[14:15], s19, v5
	v_mov_b32_e32 v6, 0
	s_and_saveexec_b64 s[16:17], s[14:15]
	s_cbranch_execz .LBB6_12
; %bb.11:
	v_lshlrev_b64 v[5:6], 2, v[1:2]
	v_mov_b32_e32 v8, s26
	v_add_co_u32_e32 v5, vcc, s18, v5
	v_addc_co_u32_e32 v6, vcc, v8, v6, vcc
	global_load_dword v6, v[5:6], off offset:8
.LBB6_12:
	s_or_b64 exec, exec, s[16:17]
	s_and_saveexec_b64 s[16:17], s[14:15]
	s_cbranch_execz .LBB6_14
; %bb.13:
	v_lshlrev_b64 v[7:8], 2, v[1:2]
	v_mov_b32_e32 v5, s27
	v_add_co_u32_e32 v7, vcc, s25, v7
	v_addc_co_u32_e32 v8, vcc, v5, v8, vcc
	global_load_dword v7, v[7:8], off offset:8
.LBB6_14:
	s_or_b64 exec, exec, s[16:17]
	s_waitcnt vmcnt(0)
	v_add_f32_e32 v7, s24, v7
	v_mul_f32_e32 v5, 0x3fb8aa3b, v7
	v_exp_f32_e32 v5, v5
	s_mov_b32 s16, 0x800000
	s_mov_b32 s17, 0x7f800000
	v_mov_b32_e32 v10, 0x41b17218
	v_add_f32_e32 v5, 1.0, v5
	v_cmp_gt_f32_e32 vcc, s16, v5
	v_cndmask_b32_e64 v8, 0, 32, vcc
	v_ldexp_f32 v5, v5, v8
	v_log_f32_e32 v5, v5
	s_mov_b32 s16, 0x3f317217
	s_mov_b32 s22, 0x41a00000
	v_cndmask_b32_e32 v10, 0, v10, vcc
	v_mul_f32_e32 v8, 0x3f317217, v5
	v_fma_f32 v8, v5, s16, -v8
	v_fmac_f32_e32 v8, 0x3377d1cf, v5
	v_fmac_f32_e32 v8, 0x3f317217, v5
	v_cmp_lt_f32_e64 s[16:17], |v5|, s17
	v_cndmask_b32_e64 v8, v5, v8, s[16:17]
	v_sub_f32_e32 v8, v8, v10
	v_cmp_lt_f32_e32 vcc, s22, v7
	v_cndmask_b32_e32 v7, v8, v7, vcc
	v_add_u32_e32 v8, 24, v9
	ds_write2st64_b32 v8, v6, v7 offset1:8
	v_or_b32_e32 v6, 3, v1
	v_mov_b32_e32 v5, 0
	v_cmp_le_i32_e32 vcc, s19, v6
	v_cmp_gt_i32_e64 s[16:17], s19, v6
	s_and_saveexec_b64 s[22:23], s[16:17]
	s_cbranch_execz .LBB6_16
; %bb.15:
	v_lshlrev_b64 v[5:6], 2, v[1:2]
	v_mov_b32_e32 v7, s26
	v_add_co_u32_e64 v5, s[18:19], s18, v5
	v_addc_co_u32_e64 v6, s[18:19], v7, v6, s[18:19]
	global_load_dword v5, v[5:6], off offset:12
.LBB6_16:
	s_or_b64 exec, exec, s[22:23]
	s_and_saveexec_b64 s[18:19], vcc
	s_xor_b64 s[18:19], exec, s[18:19]
	s_or_saveexec_b64 s[18:19], s[18:19]
	s_load_dword s33, s[4:5], 0x10
	s_load_dwordx8 s[56:63], s[4:5], 0x58
	v_mov_b32_e32 v10, 0
	v_mov_b32_e32 v6, 0
	s_xor_b64 exec, exec, s[18:19]
	s_cbranch_execz .LBB6_18
; %bb.17:
	v_lshlrev_b64 v[6:7], 2, v[1:2]
	v_mov_b32_e32 v8, s27
	v_add_co_u32_e32 v6, vcc, s25, v6
	v_addc_co_u32_e32 v7, vcc, v8, v7, vcc
	global_load_dword v6, v[6:7], off offset:12
.LBB6_18:
	s_or_b64 exec, exec, s[18:19]
	s_waitcnt vmcnt(0)
	v_add_f32_e32 v6, s24, v6
	v_mul_f32_e32 v7, 0x3fb8aa3b, v6
	v_exp_f32_e32 v7, v7
	s_mov_b32 s4, 0x800000
	s_mov_b32 s5, 0x7f800000
	;; [unrolled: 1-line block ×3, first 2 shown]
	v_add_f32_e32 v7, 1.0, v7
	v_cmp_gt_f32_e32 vcc, s4, v7
	v_cndmask_b32_e64 v8, 0, 32, vcc
	v_ldexp_f32 v7, v7, v8
	v_log_f32_e32 v7, v7
	s_mov_b32 s4, 0x3f317217
	s_mul_i32 s77, s74, s70
	s_mul_i32 s74, s74, s40
	v_mul_f32_e32 v8, 0x3f317217, v7
	v_fma_f32 v8, v7, s4, -v8
	v_fmac_f32_e32 v8, 0x3377d1cf, v7
	v_fmac_f32_e32 v8, 0x3f317217, v7
	v_cmp_lt_f32_e64 s[4:5], |v7|, s5
	v_cndmask_b32_e64 v7, v7, v8, s[4:5]
	v_mov_b32_e32 v8, 0x41b17218
	v_cndmask_b32_e32 v8, 0, v8, vcc
	v_sub_f32_e32 v7, v7, v8
	v_cmp_lt_f32_e32 vcc, s18, v6
	s_add_u32 s4, s66, s20
	v_cndmask_b32_e32 v6, v7, v6, vcc
	v_add_u32_e32 v7, 28, v9
	s_addc_u32 s5, s67, s21
	ds_write2st64_b32 v7, v5, v6 offset1:8
	s_waitcnt lgkmcnt(0)
	s_barrier
	s_load_dword s4, s[4:5], 0x0
	ds_read2_b32 v[5:6], v9 offset0:4 offset1:5
	ds_read2_b32 v[7:8], v9 offset0:6 offset1:7
	s_lshl_b32 s50, s42, 3
	s_cmp_lg_u32 s7, 0
	s_mul_i32 s70, s42, s41
	s_waitcnt lgkmcnt(0)
	v_mul_f32_e32 v14, s4, v5
	v_mbcnt_lo_u32_b32 v5, -1, 0
	v_mbcnt_hi_u32_b32 v5, -1, v5
	v_mul_f32_e32 v13, s4, v6
	v_and_b32_e32 v6, 15, v5
	v_cmp_ne_u32_e64 s[18:19], 0, v6
	v_cmp_lt_u32_e64 s[20:21], 1, v6
	v_cmp_lt_u32_e64 s[22:23], 3, v6
	;; [unrolled: 1-line block ×3, first 2 shown]
	v_and_b32_e32 v6, 16, v5
	v_cmp_ne_u32_e64 s[26:27], 0, v6
	v_or_b32_e32 v6, 63, v0
	v_mul_f32_e32 v12, s4, v7
	v_cmp_eq_u32_e64 s[30:31], v0, v6
	v_subrev_co_u32_e64 v6, s[38:39], 1, v5
	v_and_b32_e32 v7, 64, v5
	v_cmp_lt_i32_e32 vcc, v6, v7
	v_cndmask_b32_e32 v6, v6, v5, vcc
	v_lshlrev_b32_e32 v15, 2, v6
	v_lshrrev_b32_e32 v6, 3, v0
	v_mul_f32_e32 v11, s4, v8
	s_cselect_b64 s[4:5], -1, 0
	v_and_b32_e32 v6, 8, v6
	s_mul_i32 s6, s6, s33
	s_ashr_i32 s51, s50, 31
	s_add_i32 s70, s70, s74
	v_add_u32_e32 v16, 0, v6
	v_lshlrev_b32_e32 v6, 3, v0
	v_cmp_eq_u32_e64 s[42:43], v0, v3
	v_lshlrev_b32_e32 v3, 3, v4
	s_ashr_i32 s78, s7, 31
	s_lshl_b32 s6, s6, 3
	s_lshl_b64 s[50:51], s[50:51], 2
	v_cmp_lt_u32_e64 s[28:29], 31, v5
	v_sub_u32_e32 v6, 0, v6
	v_and_b32_e32 v5, 1, v5
	v_mov_b32_e32 v18, v3
	v_mov_b32_e32 v3, 0x1010
	s_add_u32 s50, s52, s50
	s_mov_b32 s76, 0
	v_cmp_gt_u32_e64 s[34:35], 2, v0
	v_cmp_lt_u32_e64 s[36:37], 63, v0
	v_cmp_eq_u32_e64 s[40:41], 0, v5
	v_add_u32_e32 v17, -8, v16
	v_lshl_add_u32 v19, v0, 4, v3
	s_addc_u32 s51, s53, s51
	v_add_u32_e32 v20, v9, v6
	s_mov_b32 s52, s70
	s_branch .LBB6_20
.LBB6_19:                               ;   in Loop: Header=BB6_20 Depth=1
	s_or_b64 exec, exec, s[66:67]
	s_add_i32 s76, s76, 4
	s_add_i32 s77, s77, s71
	;; [unrolled: 1-line block ×4, first 2 shown]
	s_add_u32 s50, s50, 4
	v_fmac_f32_e32 v21, v4, v27
	v_fmac_f32_e32 v28, v4, v22
	;; [unrolled: 1-line block ×4, first 2 shown]
	s_addc_u32 s51, s51, 0
	s_waitcnt lgkmcnt(1)
	v_fmac_f32_e32 v14, v7, v21
	v_fmac_f32_e32 v13, v8, v28
	s_waitcnt lgkmcnt(0)
	v_fmac_f32_e32 v12, v5, v26
	v_fmac_f32_e32 v11, v6, v25
	s_cmp_eq_u32 s76, 32
	v_add_u32_e32 v19, 0x800, v19
	s_waitcnt vmcnt(0)
	s_barrier
	s_cbranch_scc1 .LBB6_64
.LBB6_20:                               ; =>This Inner Loop Header: Depth=1
	s_and_saveexec_b64 s[66:67], s[46:47]
	s_cbranch_execz .LBB6_25
; %bb.21:                               ;   in Loop: Header=BB6_20 Depth=1
	s_and_b64 vcc, exec, s[4:5]
	s_cbranch_vccz .LBB6_63
; %bb.22:                               ;   in Loop: Header=BB6_20 Depth=1
	s_ashr_i32 s53, s6, 31
	s_add_u32 s68, s7, s6
	s_addc_u32 s69, s78, s53
	s_lshl_b64 s[68:69], s[68:69], 2
	s_add_u32 s74, s60, s68
	s_addc_u32 s75, s61, s69
	global_load_dword v3, v10, s[74:75] offset:-4
	s_add_u32 s53, s62, s68
	s_addc_u32 s69, s63, s69
	s_add_u32 s68, s53, -4
	s_addc_u32 s69, s69, -1
	s_cbranch_execnz .LBB6_24
.LBB6_23:                               ;   in Loop: Header=BB6_20 Depth=1
	s_ashr_i32 s53, s52, 31
	s_lshl_b64 s[68:69], s[52:53], 2
	s_add_u32 s68, s56, s68
	s_addc_u32 s69, s57, s69
	s_waitcnt vmcnt(0)
	v_mov_b32_e32 v3, 1.0
.LBB6_24:                               ;   in Loop: Header=BB6_20 Depth=1
	global_load_dword v4, v10, s[68:69]
	s_add_i32 s53, s76, 0
	v_mov_b32_e32 v5, s53
	v_add_u32_e32 v5, 0x9000, v5
	s_waitcnt vmcnt(0)
	ds_write2_b32 v5, v3, v4 offset0:4 offset1:12
.LBB6_25:                               ;   in Loop: Header=BB6_20 Depth=1
	s_or_b64 exec, exec, s[66:67]
	v_add_u32_e32 v7, 0, v19
	s_and_saveexec_b64 s[66:67], s[10:11]
	s_xor_b64 s[66:67], exec, s[66:67]
; %bb.26:                               ;   in Loop: Header=BB6_20 Depth=1
	ds_write_b32 v7, v10
; %bb.27:                               ;   in Loop: Header=BB6_20 Depth=1
	s_or_saveexec_b64 s[66:67], s[66:67]
	v_mov_b32_e32 v3, 0
	v_mov_b32_e32 v4, 0
	s_xor_b64 exec, exec, s[66:67]
	s_cbranch_execz .LBB6_29
; %bb.28:                               ;   in Loop: Header=BB6_20 Depth=1
	v_add_u32_e32 v4, s77, v1
	v_ashrrev_i32_e32 v5, 31, v4
	v_lshlrev_b64 v[4:5], 2, v[4:5]
	v_mov_b32_e32 v6, s55
	v_add_co_u32_e32 v21, vcc, s54, v4
	v_addc_co_u32_e32 v22, vcc, v6, v5, vcc
	v_mov_b32_e32 v8, s65
	v_add_co_u32_e32 v4, vcc, s64, v4
	v_addc_co_u32_e32 v5, vcc, v8, v5, vcc
	global_load_dword v6, v[21:22], off
	s_waitcnt vmcnt(0)
	ds_write_b32 v7, v6
	global_load_dword v4, v[4:5], off
.LBB6_29:                               ;   in Loop: Header=BB6_20 Depth=1
	s_or_b64 exec, exec, s[66:67]
	s_waitcnt vmcnt(0)
	ds_write_b32 v7, v4 offset:16384
	s_and_saveexec_b64 s[66:67], s[12:13]
	s_cbranch_execz .LBB6_31
; %bb.30:                               ;   in Loop: Header=BB6_20 Depth=1
	s_ashr_i32 s53, s77, 31
	v_mov_b32_e32 v4, s53
	v_add_co_u32_e32 v3, vcc, s77, v1
	v_addc_co_u32_e32 v4, vcc, v4, v2, vcc
	v_lshlrev_b64 v[3:4], 2, v[3:4]
	v_mov_b32_e32 v5, s55
	v_add_co_u32_e32 v3, vcc, s54, v3
	v_addc_co_u32_e32 v4, vcc, v5, v4, vcc
	global_load_dword v3, v[3:4], off offset:4
.LBB6_31:                               ;   in Loop: Header=BB6_20 Depth=1
	s_or_b64 exec, exec, s[66:67]
	s_waitcnt vmcnt(0)
	ds_write_b32 v7, v3 offset:4
	v_mov_b32_e32 v3, 0
	v_mov_b32_e32 v4, 0
	s_and_saveexec_b64 s[66:67], s[12:13]
	s_cbranch_execz .LBB6_33
; %bb.32:                               ;   in Loop: Header=BB6_20 Depth=1
	s_ashr_i32 s53, s77, 31
	v_mov_b32_e32 v5, s53
	v_add_co_u32_e32 v4, vcc, s77, v1
	v_addc_co_u32_e32 v5, vcc, v5, v2, vcc
	v_lshlrev_b64 v[4:5], 2, v[4:5]
	v_mov_b32_e32 v6, s65
	v_add_co_u32_e32 v4, vcc, s64, v4
	v_addc_co_u32_e32 v5, vcc, v6, v5, vcc
	global_load_dword v4, v[4:5], off offset:4
.LBB6_33:                               ;   in Loop: Header=BB6_20 Depth=1
	s_or_b64 exec, exec, s[66:67]
	s_waitcnt vmcnt(0)
	ds_write_b32 v7, v4 offset:16388
	s_and_saveexec_b64 s[66:67], s[14:15]
	s_cbranch_execz .LBB6_35
; %bb.34:                               ;   in Loop: Header=BB6_20 Depth=1
	s_ashr_i32 s53, s77, 31
	v_mov_b32_e32 v4, s53
	v_add_co_u32_e32 v3, vcc, s77, v1
	v_addc_co_u32_e32 v4, vcc, v4, v2, vcc
	v_lshlrev_b64 v[3:4], 2, v[3:4]
	v_mov_b32_e32 v5, s55
	v_add_co_u32_e32 v3, vcc, s54, v3
	v_addc_co_u32_e32 v4, vcc, v5, v4, vcc
	global_load_dword v3, v[3:4], off offset:8
.LBB6_35:                               ;   in Loop: Header=BB6_20 Depth=1
	s_or_b64 exec, exec, s[66:67]
	s_waitcnt vmcnt(0)
	ds_write_b32 v7, v3 offset:8
	v_mov_b32_e32 v3, 0
	v_mov_b32_e32 v4, 0
	s_and_saveexec_b64 s[66:67], s[14:15]
	s_cbranch_execz .LBB6_37
; %bb.36:                               ;   in Loop: Header=BB6_20 Depth=1
	s_ashr_i32 s53, s77, 31
	v_mov_b32_e32 v5, s53
	v_add_co_u32_e32 v4, vcc, s77, v1
	v_addc_co_u32_e32 v5, vcc, v5, v2, vcc
	v_lshlrev_b64 v[4:5], 2, v[4:5]
	v_mov_b32_e32 v6, s65
	v_add_co_u32_e32 v4, vcc, s64, v4
	v_addc_co_u32_e32 v5, vcc, v6, v5, vcc
	global_load_dword v4, v[4:5], off offset:8
.LBB6_37:                               ;   in Loop: Header=BB6_20 Depth=1
	s_or_b64 exec, exec, s[66:67]
	s_waitcnt vmcnt(0)
	ds_write_b32 v7, v4 offset:16392
	s_and_saveexec_b64 s[66:67], s[16:17]
	s_cbranch_execz .LBB6_39
; %bb.38:                               ;   in Loop: Header=BB6_20 Depth=1
	s_ashr_i32 s53, s77, 31
	v_mov_b32_e32 v4, s53
	v_add_co_u32_e32 v3, vcc, s77, v1
	v_addc_co_u32_e32 v4, vcc, v4, v2, vcc
	v_lshlrev_b64 v[3:4], 2, v[3:4]
	v_mov_b32_e32 v5, s55
	v_add_co_u32_e32 v3, vcc, s54, v3
	v_addc_co_u32_e32 v4, vcc, v5, v4, vcc
	global_load_dword v3, v[3:4], off offset:12
.LBB6_39:                               ;   in Loop: Header=BB6_20 Depth=1
	s_or_b64 exec, exec, s[66:67]
	s_waitcnt vmcnt(0)
	ds_write_b32 v7, v3 offset:12
	v_mov_b32_e32 v3, 0
	s_and_saveexec_b64 s[66:67], s[16:17]
	s_cbranch_execz .LBB6_41
; %bb.40:                               ;   in Loop: Header=BB6_20 Depth=1
	s_ashr_i32 s53, s77, 31
	v_mov_b32_e32 v4, s53
	v_add_co_u32_e32 v3, vcc, s77, v1
	v_addc_co_u32_e32 v4, vcc, v4, v2, vcc
	v_lshlrev_b64 v[3:4], 2, v[3:4]
	v_mov_b32_e32 v5, s65
	v_add_co_u32_e32 v3, vcc, s64, v3
	v_addc_co_u32_e32 v4, vcc, v5, v4, vcc
	global_load_dword v3, v[3:4], off offset:12
.LBB6_41:                               ;   in Loop: Header=BB6_20 Depth=1
	s_or_b64 exec, exec, s[66:67]
	s_waitcnt vmcnt(0)
	ds_write_b32 v7, v3 offset:16396
	s_waitcnt lgkmcnt(0)
	s_barrier
	global_load_dword v33, v10, s[50:51]
	v_add_u32_e32 v3, 0x810, v9
	v_add_u32_e32 v4, 0x818, v9
	ds_read2_b32 v[5:6], v9 offset0:4 offset1:5
	ds_read2_b32 v[22:23], v9 offset0:6 offset1:7
	ds_read2_b32 v[24:25], v7 offset1:1
	ds_read2_b32 v[26:27], v3 offset1:1
	ds_read2_b32 v[28:29], v7 offset0:2 offset1:3
	ds_read2_b32 v[31:32], v4 offset1:1
	s_add_i32 s53, s76, 0
	v_mov_b32_e32 v8, s53
	v_add_u32_e32 v3, 0x9000, v8
	s_waitcnt lgkmcnt(2)
	v_mul_f32_e32 v8, v26, v24
	v_mul_f32_e32 v24, v27, v25
	s_waitcnt lgkmcnt(0)
	v_mul_f32_e32 v25, v31, v28
	v_mul_f32_e32 v21, v5, v8
	;; [unrolled: 1-line block ×6, first 2 shown]
	ds_read2_b32 v[3:4], v3 offset0:4 offset1:12
	s_waitcnt vmcnt(0)
	v_mul_f32_e32 v5, v26, v33
	v_mul_f32_e32 v6, v27, v33
	;; [unrolled: 1-line block ×7, first 2 shown]
	v_exp_f32_e32 v27, v5
	v_exp_f32_e32 v33, v6
	v_mul_f32_e32 v5, 0x3fb8aa3b, v23
	v_exp_f32_e32 v32, v22
	v_exp_f32_e32 v31, v5
	v_mul_f32_e32 v22, v27, v33
	v_fma_f32 v28, v21, v33, v8
	v_mul_f32_e32 v23, v22, v32
	v_fma_f32 v26, v28, v32, v29
	;; [unrolled: 2-line block ×3, first 2 shown]
	v_mov_b32_e32 v34, v25
	v_mov_b32_dpp v6, v24 row_shr:1 row_mask:0xf bank_mask:0xf
	v_mov_b32_dpp v5, v25 row_shr:1 row_mask:0xf bank_mask:0xf
	v_mov_b32_e32 v35, v24
	s_and_saveexec_b64 s[66:67], s[18:19]
; %bb.42:                               ;   in Loop: Header=BB6_20 Depth=1
	v_mov_b32_e32 v34, v25
	v_mul_f32_e32 v35, v24, v6
	v_fmac_f32_e32 v34, v24, v5
; %bb.43:                               ;   in Loop: Header=BB6_20 Depth=1
	s_or_b64 exec, exec, s[66:67]
	v_mov_b32_dpp v6, v35 row_shr:2 row_mask:0xf bank_mask:0xf
	v_mov_b32_dpp v5, v34 row_shr:2 row_mask:0xf bank_mask:0xf
	s_and_saveexec_b64 s[66:67], s[20:21]
; %bb.44:                               ;   in Loop: Header=BB6_20 Depth=1
	v_mul_f32_e32 v6, v35, v6
	v_fmac_f32_e32 v34, v35, v5
	v_mov_b32_e32 v35, v6
; %bb.45:                               ;   in Loop: Header=BB6_20 Depth=1
	s_or_b64 exec, exec, s[66:67]
	s_nop 0
	v_mov_b32_dpp v6, v35 row_shr:4 row_mask:0xf bank_mask:0xf
	v_mov_b32_dpp v5, v34 row_shr:4 row_mask:0xf bank_mask:0xf
	s_and_saveexec_b64 s[66:67], s[22:23]
; %bb.46:                               ;   in Loop: Header=BB6_20 Depth=1
	v_mul_f32_e32 v6, v35, v6
	v_fmac_f32_e32 v34, v35, v5
	v_mov_b32_e32 v35, v6
; %bb.47:                               ;   in Loop: Header=BB6_20 Depth=1
	s_or_b64 exec, exec, s[66:67]
	s_nop 0
	;; [unrolled: 10-line block ×3, first 2 shown]
	v_mov_b32_dpp v6, v35 row_bcast:15 row_mask:0xf bank_mask:0xf
	v_mov_b32_dpp v5, v34 row_bcast:15 row_mask:0xf bank_mask:0xf
	s_and_saveexec_b64 s[66:67], s[26:27]
; %bb.50:                               ;   in Loop: Header=BB6_20 Depth=1
	v_mul_f32_e32 v6, v35, v6
	v_fmac_f32_e32 v34, v35, v5
	v_mov_b32_e32 v35, v6
; %bb.51:                               ;   in Loop: Header=BB6_20 Depth=1
	s_or_b64 exec, exec, s[66:67]
	s_nop 0
	v_mov_b32_dpp v5, v35 row_bcast:31 row_mask:0xf bank_mask:0xf
	v_mov_b32_dpp v6, v34 row_bcast:31 row_mask:0xf bank_mask:0xf
	s_and_saveexec_b64 s[66:67], s[28:29]
; %bb.52:                               ;   in Loop: Header=BB6_20 Depth=1
	v_fmac_f32_e32 v34, v35, v6
	v_mul_f32_e32 v35, v35, v5
; %bb.53:                               ;   in Loop: Header=BB6_20 Depth=1
	s_or_b64 exec, exec, s[66:67]
	s_and_saveexec_b64 s[66:67], s[30:31]
; %bb.54:                               ;   in Loop: Header=BB6_20 Depth=1
	ds_write2_b32 v16, v35, v34 offset1:1
; %bb.55:                               ;   in Loop: Header=BB6_20 Depth=1
	s_or_b64 exec, exec, s[66:67]
	s_waitcnt lgkmcnt(0)
	s_barrier
	s_and_saveexec_b64 s[66:67], s[34:35]
	s_cbranch_execz .LBB6_57
; %bb.56:                               ;   in Loop: Header=BB6_20 Depth=1
	ds_read2_b32 v[5:6], v20 offset1:1
	s_waitcnt lgkmcnt(0)
	s_nop 0
	v_mov_b32_dpp v36, v5 row_shr:1 row_mask:0xf bank_mask:0xf
	v_mov_b32_dpp v37, v6 row_shr:1 row_mask:0xf bank_mask:0xf
	v_fma_f32 v37, v5, v37, v6
	v_mul_f32_e32 v36, v5, v36
	v_cndmask_b32_e64 v5, v36, v5, s[40:41]
	v_cndmask_b32_e64 v6, v37, v6, s[40:41]
	ds_write2_b32 v20, v5, v6 offset1:1
.LBB6_57:                               ;   in Loop: Header=BB6_20 Depth=1
	s_or_b64 exec, exec, s[66:67]
	s_waitcnt lgkmcnt(0)
	s_barrier
                                        ; implicit-def: $vgpr6
	s_and_saveexec_b64 s[66:67], s[36:37]
	s_cbranch_execz .LBB6_59
; %bb.58:                               ;   in Loop: Header=BB6_20 Depth=1
	ds_read2_b32 v[5:6], v17 offset1:1
	s_waitcnt lgkmcnt(0)
	v_mul_f32_e32 v36, v35, v5
	v_fmac_f32_e32 v34, v35, v6
	v_mov_b32_e32 v35, v36
.LBB6_59:                               ;   in Loop: Header=BB6_20 Depth=1
	s_or_b64 exec, exec, s[66:67]
	ds_bpermute_b32 v35, v15, v35
	ds_bpermute_b32 v34, v15, v34
	s_and_saveexec_b64 s[66:67], s[44:45]
	s_cbranch_execz .LBB6_61
; %bb.60:                               ;   in Loop: Header=BB6_20 Depth=1
	s_waitcnt lgkmcnt(0)
	v_cndmask_b32_e64 v6, v34, v6, s[38:39]
	v_cndmask_b32_e64 v5, v35, v5, s[38:39]
	v_fmac_f32_e32 v21, v27, v6
	v_mul_f32_e32 v5, v27, v5
	v_fmac_f32_e32 v8, v21, v33
	v_mul_f32_e32 v22, v5, v33
	;; [unrolled: 2-line block ×4, first 2 shown]
	v_mov_b32_e32 v25, v30
	v_mov_b32_e32 v26, v29
	;; [unrolled: 1-line block ×4, first 2 shown]
	;;#ASMSTART
	;;#ASMEND
.LBB6_61:                               ;   in Loop: Header=BB6_20 Depth=1
	s_or_b64 exec, exec, s[66:67]
	v_add_u32_e32 v5, 0x4000, v7
	v_add_u32_e32 v6, 0x4008, v7
	buffer_store_dword v27, off, s[0:3], 0
	buffer_store_dword v21, off, s[0:3], 0 offset:4
	buffer_store_dword v22, off, s[0:3], 0 offset:8
	;; [unrolled: 1-line block ×7, first 2 shown]
	s_waitcnt vmcnt(0) lgkmcnt(0)
	s_barrier
	ds_read2_b32 v[7:8], v5 offset1:1
	ds_read2_b32 v[5:6], v6 offset1:1
	s_and_saveexec_b64 s[66:67], s[42:43]
	s_cbranch_execz .LBB6_19
; %bb.62:                               ;   in Loop: Header=BB6_20 Depth=1
	buffer_load_dword v29, v18, s[0:3], 0 offen
	buffer_load_dword v30, v18, s[0:3], 0 offen offset:4
	s_add_i32 s68, s7, s6
	s_ashr_i32 s69, s68, 31
	s_lshl_b64 s[68:69], s[68:69], 2
	s_add_u32 s74, s60, s68
	v_mov_b32_e32 v31, s53
	s_addc_u32 s75, s61, s69
	v_add_u32_e32 v31, 0x9000, v31
	s_add_u32 s68, s62, s68
	s_addc_u32 s69, s63, s69
	s_waitcnt vmcnt(1)
	v_mul_f32_e32 v3, v3, v29
	s_waitcnt vmcnt(0)
	v_fmac_f32_e32 v30, v4, v29
	global_store_dword v10, v3, s[74:75]
	global_store_dword v10, v30, s[68:69]
	ds_write2_b32 v31, v3, v30 offset0:4 offset1:12
	s_branch .LBB6_19
.LBB6_63:                               ;   in Loop: Header=BB6_20 Depth=1
                                        ; implicit-def: $sgpr68_sgpr69
                                        ; implicit-def: $vgpr3
	s_branch .LBB6_23
.LBB6_64:
	s_add_u32 s4, s58, s72
	s_addc_u32 s5, s59, s73
	s_add_u32 s6, s4, s48
	v_lshlrev_b64 v[1:2], 2, v[1:2]
	s_addc_u32 s10, s5, s49
	s_and_saveexec_b64 s[4:5], s[8:9]
	s_cbranch_execnz .LBB6_72
; %bb.65:
	s_or_b64 exec, exec, s[4:5]
	s_and_saveexec_b64 s[4:5], s[12:13]
	s_cbranch_execnz .LBB6_73
.LBB6_66:
	s_or_b64 exec, exec, s[4:5]
	s_and_saveexec_b64 s[4:5], s[14:15]
	s_cbranch_execnz .LBB6_74
.LBB6_67:
	s_or_b64 exec, exec, s[4:5]
	s_and_saveexec_b64 s[4:5], s[16:17]
	s_cbranch_execz .LBB6_69
.LBB6_68:
	v_mov_b32_e32 v3, s10
	v_add_co_u32_e32 v1, vcc, s6, v1
	v_addc_co_u32_e32 v2, vcc, v3, v2, vcc
	global_store_dword v[1:2], v11, off offset:12
.LBB6_69:
	s_or_b64 exec, exec, s[4:5]
	s_add_i32 s33, s33, -1
	s_cmp_eq_u32 s7, s33
	s_cselect_b64 s[4:5], -1, 0
	v_cmp_gt_u32_e32 vcc, 8, v0
	s_and_b64 s[4:5], s[4:5], vcc
	s_and_saveexec_b64 s[6:7], s[4:5]
	s_cbranch_execz .LBB6_71
; %bb.70:
	v_lshl_add_u32 v1, v0, 2, 0
	v_add_u32_e32 v0, s70, v0
	ds_read_b32 v2, v1 offset:36912
	v_ashrrev_i32_e32 v1, 31, v0
	v_lshlrev_b64 v[0:1], 2, v[0:1]
	v_mov_b32_e32 v3, s57
	v_add_co_u32_e32 v0, vcc, s56, v0
	v_addc_co_u32_e32 v1, vcc, v3, v1, vcc
	s_waitcnt lgkmcnt(0)
	global_store_dword v[0:1], v2, off
.LBB6_71:
	s_endpgm
.LBB6_72:
	v_mov_b32_e32 v4, s10
	v_add_co_u32_e32 v3, vcc, s6, v1
	v_addc_co_u32_e32 v4, vcc, v4, v2, vcc
	global_store_dword v[3:4], v14, off
	s_or_b64 exec, exec, s[4:5]
	s_and_saveexec_b64 s[4:5], s[12:13]
	s_cbranch_execz .LBB6_66
.LBB6_73:
	v_mov_b32_e32 v4, s10
	v_add_co_u32_e32 v3, vcc, s6, v1
	v_addc_co_u32_e32 v4, vcc, v4, v2, vcc
	global_store_dword v[3:4], v13, off offset:4
	s_or_b64 exec, exec, s[4:5]
	s_and_saveexec_b64 s[4:5], s[14:15]
	s_cbranch_execz .LBB6_67
.LBB6_74:
	v_mov_b32_e32 v4, s10
	v_add_co_u32_e32 v3, vcc, s6, v1
	v_addc_co_u32_e32 v4, vcc, v4, v2, vcc
	global_store_dword v[3:4], v12, off offset:8
	s_or_b64 exec, exec, s[4:5]
	s_and_saveexec_b64 s[4:5], s[16:17]
	s_cbranch_execnz .LBB6_68
	s_branch .LBB6_69
	.section	.rodata,"a",@progbits
	.p2align	6, 0x0
	.amdhsa_kernel _Z26selective_scan_vllm_kernelI18SSMFwdKernelTraitsILi128ELi4ELi8ELb0ELb1ELb0EEEv13SSMParamsBase
		.amdhsa_group_segment_fixed_size 0
		.amdhsa_private_segment_fixed_size 48
		.amdhsa_kernarg_size 144
		.amdhsa_user_sgpr_count 6
		.amdhsa_user_sgpr_private_segment_buffer 1
		.amdhsa_user_sgpr_dispatch_ptr 0
		.amdhsa_user_sgpr_queue_ptr 0
		.amdhsa_user_sgpr_kernarg_segment_ptr 1
		.amdhsa_user_sgpr_dispatch_id 0
		.amdhsa_user_sgpr_flat_scratch_init 0
		.amdhsa_user_sgpr_private_segment_size 0
		.amdhsa_uses_dynamic_stack 0
		.amdhsa_system_sgpr_private_segment_wavefront_offset 1
		.amdhsa_system_sgpr_workgroup_id_x 1
		.amdhsa_system_sgpr_workgroup_id_y 1
		.amdhsa_system_sgpr_workgroup_id_z 0
		.amdhsa_system_sgpr_workgroup_info 0
		.amdhsa_system_vgpr_workitem_id 0
		.amdhsa_next_free_vgpr 38
		.amdhsa_next_free_sgpr 79
		.amdhsa_reserve_vcc 1
		.amdhsa_reserve_flat_scratch 0
		.amdhsa_float_round_mode_32 0
		.amdhsa_float_round_mode_16_64 0
		.amdhsa_float_denorm_mode_32 3
		.amdhsa_float_denorm_mode_16_64 3
		.amdhsa_dx10_clamp 1
		.amdhsa_ieee_mode 1
		.amdhsa_fp16_overflow 0
		.amdhsa_exception_fp_ieee_invalid_op 0
		.amdhsa_exception_fp_denorm_src 0
		.amdhsa_exception_fp_ieee_div_zero 0
		.amdhsa_exception_fp_ieee_overflow 0
		.amdhsa_exception_fp_ieee_underflow 0
		.amdhsa_exception_fp_ieee_inexact 0
		.amdhsa_exception_int_div_zero 0
	.end_amdhsa_kernel
	.section	.text._Z26selective_scan_vllm_kernelI18SSMFwdKernelTraitsILi128ELi4ELi8ELb0ELb1ELb0EEEv13SSMParamsBase,"axG",@progbits,_Z26selective_scan_vllm_kernelI18SSMFwdKernelTraitsILi128ELi4ELi8ELb0ELb1ELb0EEEv13SSMParamsBase,comdat
.Lfunc_end6:
	.size	_Z26selective_scan_vllm_kernelI18SSMFwdKernelTraitsILi128ELi4ELi8ELb0ELb1ELb0EEEv13SSMParamsBase, .Lfunc_end6-_Z26selective_scan_vllm_kernelI18SSMFwdKernelTraitsILi128ELi4ELi8ELb0ELb1ELb0EEEv13SSMParamsBase
                                        ; -- End function
	.set _Z26selective_scan_vllm_kernelI18SSMFwdKernelTraitsILi128ELi4ELi8ELb0ELb1ELb0EEEv13SSMParamsBase.num_vgpr, 38
	.set _Z26selective_scan_vllm_kernelI18SSMFwdKernelTraitsILi128ELi4ELi8ELb0ELb1ELb0EEEv13SSMParamsBase.num_agpr, 0
	.set _Z26selective_scan_vllm_kernelI18SSMFwdKernelTraitsILi128ELi4ELi8ELb0ELb1ELb0EEEv13SSMParamsBase.numbered_sgpr, 79
	.set _Z26selective_scan_vllm_kernelI18SSMFwdKernelTraitsILi128ELi4ELi8ELb0ELb1ELb0EEEv13SSMParamsBase.num_named_barrier, 0
	.set _Z26selective_scan_vllm_kernelI18SSMFwdKernelTraitsILi128ELi4ELi8ELb0ELb1ELb0EEEv13SSMParamsBase.private_seg_size, 48
	.set _Z26selective_scan_vllm_kernelI18SSMFwdKernelTraitsILi128ELi4ELi8ELb0ELb1ELb0EEEv13SSMParamsBase.uses_vcc, 1
	.set _Z26selective_scan_vllm_kernelI18SSMFwdKernelTraitsILi128ELi4ELi8ELb0ELb1ELb0EEEv13SSMParamsBase.uses_flat_scratch, 0
	.set _Z26selective_scan_vllm_kernelI18SSMFwdKernelTraitsILi128ELi4ELi8ELb0ELb1ELb0EEEv13SSMParamsBase.has_dyn_sized_stack, 0
	.set _Z26selective_scan_vllm_kernelI18SSMFwdKernelTraitsILi128ELi4ELi8ELb0ELb1ELb0EEEv13SSMParamsBase.has_recursion, 0
	.set _Z26selective_scan_vllm_kernelI18SSMFwdKernelTraitsILi128ELi4ELi8ELb0ELb1ELb0EEEv13SSMParamsBase.has_indirect_call, 0
	.section	.AMDGPU.csdata,"",@progbits
; Kernel info:
; codeLenInByte = 3820
; TotalNumSgprs: 83
; NumVgprs: 38
; ScratchSize: 48
; MemoryBound: 0
; FloatMode: 240
; IeeeMode: 1
; LDSByteSize: 0 bytes/workgroup (compile time only)
; SGPRBlocks: 10
; VGPRBlocks: 9
; NumSGPRsForWavesPerEU: 83
; NumVGPRsForWavesPerEU: 38
; Occupancy: 6
; WaveLimiterHint : 0
; COMPUTE_PGM_RSRC2:SCRATCH_EN: 1
; COMPUTE_PGM_RSRC2:USER_SGPR: 6
; COMPUTE_PGM_RSRC2:TRAP_HANDLER: 0
; COMPUTE_PGM_RSRC2:TGID_X_EN: 1
; COMPUTE_PGM_RSRC2:TGID_Y_EN: 1
; COMPUTE_PGM_RSRC2:TGID_Z_EN: 0
; COMPUTE_PGM_RSRC2:TIDIG_COMP_CNT: 0
	.section	.text._Z26selective_scan_vllm_kernelI18SSMFwdKernelTraitsILi128ELi4ELi8ELb0ELb0ELb1EEEv13SSMParamsBase,"axG",@progbits,_Z26selective_scan_vllm_kernelI18SSMFwdKernelTraitsILi128ELi4ELi8ELb0ELb0ELb1EEEv13SSMParamsBase,comdat
	.protected	_Z26selective_scan_vllm_kernelI18SSMFwdKernelTraitsILi128ELi4ELi8ELb0ELb0ELb1EEEv13SSMParamsBase ; -- Begin function _Z26selective_scan_vllm_kernelI18SSMFwdKernelTraitsILi128ELi4ELi8ELb0ELb0ELb1EEEv13SSMParamsBase
	.globl	_Z26selective_scan_vllm_kernelI18SSMFwdKernelTraitsILi128ELi4ELi8ELb0ELb0ELb1EEEv13SSMParamsBase
	.p2align	8
	.type	_Z26selective_scan_vllm_kernelI18SSMFwdKernelTraitsILi128ELi4ELi8ELb0ELb0ELb1EEEv13SSMParamsBase,@function
_Z26selective_scan_vllm_kernelI18SSMFwdKernelTraitsILi128ELi4ELi8ELb0ELb0ELb1EEEv13SSMParamsBase: ; @_Z26selective_scan_vllm_kernelI18SSMFwdKernelTraitsILi128ELi4ELi8ELb0ELb0ELb1EEEv13SSMParamsBase
; %bb.0:
	s_load_dword s10, s[4:5], 0x4
	s_load_dword s33, s[4:5], 0x10
	s_load_dwordx8 s[44:51], s[4:5], 0x18
	s_add_u32 s0, s0, s8
	s_addc_u32 s1, s1, 0
	s_waitcnt lgkmcnt(0)
	s_abs_i32 s11, s10
	v_cvt_f32_u32_e32 v1, s11
	s_load_dwordx4 s[52:55], s[4:5], 0x38
	s_load_dwordx2 s[28:29], s[4:5], 0x48
	s_load_dwordx8 s[36:43], s[4:5], 0x58
	s_load_dwordx2 s[30:31], s[4:5], 0x88
	s_load_dwordx4 s[56:59], s[4:5], 0x78
	s_sub_i32 s4, 0, s11
	v_rcp_iflag_f32_e32 v1, v1
	s_abs_i32 s14, s6
	s_ashr_i32 s12, s6, 31
	s_ashr_i32 s13, s10, 31
	v_mul_f32_e32 v1, 0x4f7ffffe, v1
	v_cvt_u32_f32_e32 v1, v1
	s_mov_b32 s66, 0
	v_cmp_eq_u32_e64 s[34:35], 0, v0
	v_readfirstlane_b32 s5, v1
	s_mul_i32 s4, s4, s5
	s_mul_hi_u32 s4, s5, s4
	s_add_i32 s5, s5, s4
	s_mul_hi_u32 s15, s14, s5
	v_cmp_ne_u32_e64 s[4:5], 0, v0
	s_and_saveexec_b64 s[8:9], s[34:35]
; %bb.1:
	v_mov_b32_e32 v1, 0x7f
	v_mov_b32_e32 v2, 3
	;; [unrolled: 1-line block ×3, first 2 shown]
	ds_write_b64 v3, v[1:2] offset:36944
; %bb.2:
	s_or_b64 exec, exec, s[8:9]
	s_mul_i32 s9, s15, s11
	s_sub_i32 s9, s14, s9
	s_xor_b32 s8, s12, s13
	s_add_i32 s12, s15, 1
	s_sub_i32 s13, s9, s11
	s_cmp_ge_u32 s9, s11
	s_cselect_b32 s12, s12, s15
	s_cselect_b32 s9, s13, s9
	s_add_i32 s13, s12, 1
	s_cmp_ge_u32 s9, s11
	s_cselect_b32 s9, s13, s12
	s_xor_b32 s9, s9, s8
	s_sub_i32 s63, s9, s8
	s_mul_i32 s8, s63, s10
	s_sub_i32 s62, s6, s8
	s_waitcnt lgkmcnt(0)
	s_mul_i32 s8, s63, s56
	s_ashr_i32 s9, s8, 31
	s_lshl_b32 s64, s7, 9
	s_lshl_b64 s[60:61], s[8:9], 2
	s_add_u32 s10, s44, s60
	s_mul_i32 s8, s62, s57
	s_addc_u32 s11, s45, s61
	s_ashr_i32 s9, s8, 31
	s_lshl_b64 s[44:45], s[8:9], 2
	v_lshlrev_b32_e32 v13, 2, v0
	s_add_u32 s8, s10, s44
	v_or_b32_e32 v1, s64, v13
	s_addc_u32 s9, s11, s45
	v_ashrrev_i32_e32 v2, 31, v1
	s_add_u32 s10, s46, s60
	v_lshlrev_b64 v[5:6], 2, v[1:2]
	s_addc_u32 s11, s47, s61
	s_add_u32 s10, s10, s44
	v_mov_b32_e32 v2, s9
	v_add_co_u32_e32 v1, vcc, s8, v5
	s_addc_u32 s11, s11, s45
	v_addc_co_u32_e32 v2, vcc, v2, v6, vcc
	v_mov_b32_e32 v8, s11
	v_add_co_u32_e32 v7, vcc, s10, v5
	v_addc_co_u32_e32 v8, vcc, v8, v6, vcc
	s_barrier
	global_load_dwordx4 v[1:4], v[1:2], off
	s_mul_i32 s56, s63, s58
	global_load_dwordx4 v[7:10], v[7:8], off
	s_mul_i32 s57, s63, s30
	s_ashr_i32 s63, s62, 31
	s_mul_i32 s58, s62, s31
	s_lshl_b64 s[30:31], s[62:63], 2
	s_add_u32 s28, s28, s30
	s_addc_u32 s29, s29, s31
	s_load_dword s46, s[28:29], 0x0
	v_mov_b32_e32 v14, 0
	v_lshl_add_u32 v15, v0, 4, 0
	s_add_u32 s28, s54, s30
	ds_read_b64 v[11:12], v14 offset:36944
	v_add_u32_e32 v16, 0x810, v15
	s_addc_u32 s29, s55, s31
	v_add_u32_e32 v17, 0x818, v15
	v_mbcnt_lo_u32_b32 v18, -1, 0
	s_lshl_b32 s54, s62, 3
	v_lshlrev_b32_e32 v21, 3, v0
	v_mbcnt_hi_u32_b32 v22, -1, v18
	s_cmp_lg_u32 s7, 0
	v_or_b32_e32 v19, 63, v0
	v_lshrrev_b32_e32 v20, 3, v0
	v_sub_u32_e32 v23, 0, v21
	v_subrev_co_u32_e64 v21, s[14:15], 1, v22
	v_and_b32_e32 v24, 64, v22
	s_mul_i32 s6, s6, s33
	v_cmp_eq_u32_e64 s[12:13], v0, v19
	v_and_b32_e32 v18, 8, v20
	v_and_b32_e32 v19, 15, v22
	v_cmp_lt_i32_e32 vcc, v21, v24
	v_and_b32_e32 v20, 16, v22
	v_add_u32_e32 v18, 0, v18
	v_cmp_ne_u32_e64 s[18:19], 0, v19
	v_cmp_lt_u32_e64 s[20:21], 1, v19
	v_cmp_lt_u32_e64 s[22:23], 3, v19
	;; [unrolled: 1-line block ×3, first 2 shown]
	v_cndmask_b32_e32 v19, v21, v22, vcc
	v_cmp_gt_u32_e64 s[8:9], 2, v0
	v_cmp_lt_u32_e64 s[10:11], 63, v0
	v_cmp_lt_u32_e64 s[16:17], 31, v22
	v_cmp_ne_u32_e64 s[26:27], 0, v20
	v_lshlrev_b32_e32 v19, 2, v19
	v_add_u32_e32 v20, -8, v18
	s_waitcnt lgkmcnt(0)
	v_cmp_eq_u32_e64 s[30:31], v0, v11
	v_add_u32_e32 v23, v15, v23
	s_mov_b32 s68, 0
	s_waitcnt vmcnt(1)
	ds_write2_b32 v15, v1, v2 offset0:4 offset1:5
	ds_write2_b32 v15, v3, v4 offset0:6 offset1:7
	s_waitcnt vmcnt(0)
	v_add_f32_e32 v1, s46, v7
	v_add_f32_e32 v2, s46, v8
	;; [unrolled: 1-line block ×4, first 2 shown]
	ds_write2_b32 v16, v1, v2 offset1:1
	ds_write2_b32 v17, v3, v4 offset1:1
	s_waitcnt lgkmcnt(0)
	s_barrier
	s_load_dword s28, s[28:29], 0x0
	ds_read2_b32 v[1:2], v15 offset0:4 offset1:5
	ds_read2_b32 v[3:4], v15 offset0:6 offset1:7
	s_cselect_b64 s[46:47], -1, 0
	s_ashr_i32 s55, s54, 31
	s_add_i32 s58, s58, s57
	v_and_b32_e32 v7, 1, v22
	s_ashr_i32 s67, s7, 31
	s_add_i32 s56, s56, s64
	s_lshl_b32 s6, s6, 3
	s_lshl_b64 s[54:55], s[54:55], 2
	s_waitcnt lgkmcnt(0)
	v_mul_f32_e32 v1, s28, v1
	v_mul_f32_e32 v2, s28, v2
	;; [unrolled: 1-line block ×4, first 2 shown]
	v_cmp_eq_u32_e64 s[28:29], 0, v7
	v_lshlrev_b32_e32 v7, 3, v12
	s_add_u32 s48, s48, s54
	v_mov_b32_e32 v21, v7
	v_add_u32_e32 v22, 0x1010, v15
	v_add_u32_e32 v7, s56, v13
	s_addc_u32 s49, s49, s55
	s_mov_b32 s54, s58
	s_branch .LBB7_4
.LBB7_3:                                ;   in Loop: Header=BB7_4 Depth=1
	s_or_b64 exec, exec, s[56:57]
	s_addk_i32 s68, 0x800
	s_add_i32 s66, s66, 4
	s_add_i32 s54, s54, 1
	;; [unrolled: 1-line block ×3, first 2 shown]
	s_add_u32 s48, s48, 4
	v_fmac_f32_e32 v25, v9, v31
	v_fmac_f32_e32 v32, v9, v26
	;; [unrolled: 1-line block ×4, first 2 shown]
	s_addc_u32 s49, s49, 0
	s_waitcnt lgkmcnt(1)
	v_fmac_f32_e32 v1, v12, v25
	v_fmac_f32_e32 v2, v13, v32
	s_waitcnt lgkmcnt(0)
	v_fmac_f32_e32 v3, v10, v30
	v_fmac_f32_e32 v4, v11, v29
	s_cmpk_eq_i32 s68, 0x4000
	v_add_u32_e32 v7, s59, v7
	s_waitcnt vmcnt(0)
	s_barrier
	s_cbranch_scc1 .LBB7_32
.LBB7_4:                                ; =>This Inner Loop Header: Depth=1
	s_and_saveexec_b64 s[56:57], s[34:35]
	s_cbranch_execz .LBB7_9
; %bb.5:                                ;   in Loop: Header=BB7_4 Depth=1
	s_and_b64 vcc, exec, s[46:47]
	s_cbranch_vccz .LBB7_31
; %bb.6:                                ;   in Loop: Header=BB7_4 Depth=1
	s_ashr_i32 s55, s6, 31
	s_add_u32 s62, s7, s6
	s_addc_u32 s63, s67, s55
	s_lshl_b64 s[62:63], s[62:63], 2
	s_add_u32 s64, s40, s62
	s_addc_u32 s65, s41, s63
	global_load_dword v8, v14, s[64:65] offset:-4
	s_add_u32 s55, s42, s62
	s_addc_u32 s63, s43, s63
	s_add_u32 s62, s55, -4
	s_addc_u32 s63, s63, -1
	s_cbranch_execnz .LBB7_8
.LBB7_7:                                ;   in Loop: Header=BB7_4 Depth=1
	s_ashr_i32 s55, s54, 31
	s_lshl_b64 s[62:63], s[54:55], 2
	s_add_u32 s62, s36, s62
	s_addc_u32 s63, s37, s63
	s_waitcnt vmcnt(0)
	v_mov_b32_e32 v8, 1.0
.LBB7_8:                                ;   in Loop: Header=BB7_4 Depth=1
	global_load_dword v9, v14, s[62:63]
	v_mov_b32_e32 v10, s66
	v_add_u32_e32 v10, 0x9000, v10
	s_waitcnt vmcnt(0)
	ds_write2_b32 v10, v8, v9 offset0:4 offset1:12
.LBB7_9:                                ;   in Loop: Header=BB7_4 Depth=1
	s_or_b64 exec, exec, s[56:57]
	v_ashrrev_i32_e32 v8, 31, v7
	v_lshlrev_b64 v[12:13], 2, v[7:8]
	v_mov_b32_e32 v9, s51
	v_add_co_u32_e32 v8, vcc, s50, v12
	v_addc_co_u32_e32 v9, vcc, v9, v13, vcc
	v_mov_b32_e32 v24, s53
	v_add_co_u32_e32 v12, vcc, s52, v12
	global_load_dwordx4 v[8:11], v[8:9], off
	v_addc_co_u32_e32 v13, vcc, v24, v13, vcc
	global_load_dwordx4 v[25:28], v[12:13], off
	v_add_u32_e32 v13, s68, v22
	v_add_u32_e32 v12, 0x4000, v13
	;; [unrolled: 1-line block ×3, first 2 shown]
	s_waitcnt vmcnt(1)
	ds_write2_b32 v13, v8, v9 offset1:1
	s_waitcnt vmcnt(0)
	ds_write2_b32 v12, v25, v26 offset1:1
	ds_write2_b32 v13, v10, v11 offset0:2 offset1:3
	ds_write2_b32 v24, v27, v28 offset1:1
	s_waitcnt lgkmcnt(0)
	s_barrier
	global_load_dword v35, v14, s[48:49]
	v_mov_b32_e32 v8, s66
	v_add_u32_e32 v8, 0x9000, v8
	ds_read2_b32 v[10:11], v16 offset1:1
	ds_read2_b32 v[25:26], v13 offset1:1
	ds_read2_b32 v[27:28], v13 offset0:2 offset1:3
	ds_read2_b32 v[29:30], v17 offset1:1
	ds_read2_b32 v[31:32], v15 offset0:4 offset1:5
	ds_read2_b32 v[33:34], v15 offset0:6 offset1:7
	;; [unrolled: 1-line block ×3, first 2 shown]
	s_waitcnt lgkmcnt(5)
	v_mul_f32_e32 v13, v10, v25
	v_mul_f32_e32 v26, v11, v26
	s_waitcnt lgkmcnt(3)
	v_mul_f32_e32 v27, v29, v27
	s_waitcnt lgkmcnt(2)
	v_mul_f32_e32 v25, v31, v13
	v_mul_f32_e32 v13, v32, v26
	s_waitcnt lgkmcnt(1)
	v_mul_f32_e32 v33, v33, v27
	v_mul_f32_e32 v28, v30, v28
	v_mul_f32_e32 v34, v34, v28
	s_waitcnt vmcnt(0)
	v_mul_f32_e32 v10, v10, v35
	v_mul_f32_e32 v11, v11, v35
	;; [unrolled: 1-line block ×7, first 2 shown]
	v_exp_f32_e32 v31, v10
	v_exp_f32_e32 v37, v11
	v_mul_f32_e32 v10, 0x3fb8aa3b, v27
	v_exp_f32_e32 v36, v26
	v_exp_f32_e32 v35, v10
	v_mul_f32_e32 v26, v31, v37
	v_fma_f32 v32, v25, v37, v13
	v_mul_f32_e32 v27, v26, v36
	v_fma_f32 v30, v32, v36, v33
	;; [unrolled: 2-line block ×3, first 2 shown]
	v_mov_b32_e32 v38, v29
	v_mov_b32_dpp v11, v28 row_shr:1 row_mask:0xf bank_mask:0xf
	v_mov_b32_dpp v10, v29 row_shr:1 row_mask:0xf bank_mask:0xf
	v_mov_b32_e32 v39, v28
	s_and_saveexec_b64 s[56:57], s[18:19]
; %bb.10:                               ;   in Loop: Header=BB7_4 Depth=1
	v_mov_b32_e32 v38, v29
	v_mul_f32_e32 v39, v28, v11
	v_fmac_f32_e32 v38, v28, v10
; %bb.11:                               ;   in Loop: Header=BB7_4 Depth=1
	s_or_b64 exec, exec, s[56:57]
	v_mov_b32_dpp v11, v39 row_shr:2 row_mask:0xf bank_mask:0xf
	v_mov_b32_dpp v10, v38 row_shr:2 row_mask:0xf bank_mask:0xf
	s_and_saveexec_b64 s[56:57], s[20:21]
; %bb.12:                               ;   in Loop: Header=BB7_4 Depth=1
	v_mul_f32_e32 v11, v39, v11
	v_fmac_f32_e32 v38, v39, v10
	v_mov_b32_e32 v39, v11
; %bb.13:                               ;   in Loop: Header=BB7_4 Depth=1
	s_or_b64 exec, exec, s[56:57]
	s_nop 0
	v_mov_b32_dpp v11, v39 row_shr:4 row_mask:0xf bank_mask:0xf
	v_mov_b32_dpp v10, v38 row_shr:4 row_mask:0xf bank_mask:0xf
	s_and_saveexec_b64 s[56:57], s[22:23]
; %bb.14:                               ;   in Loop: Header=BB7_4 Depth=1
	v_mul_f32_e32 v11, v39, v11
	v_fmac_f32_e32 v38, v39, v10
	v_mov_b32_e32 v39, v11
; %bb.15:                               ;   in Loop: Header=BB7_4 Depth=1
	s_or_b64 exec, exec, s[56:57]
	s_nop 0
	;; [unrolled: 10-line block ×3, first 2 shown]
	v_mov_b32_dpp v11, v39 row_bcast:15 row_mask:0xf bank_mask:0xf
	v_mov_b32_dpp v10, v38 row_bcast:15 row_mask:0xf bank_mask:0xf
	s_and_saveexec_b64 s[56:57], s[26:27]
; %bb.18:                               ;   in Loop: Header=BB7_4 Depth=1
	v_mul_f32_e32 v11, v39, v11
	v_fmac_f32_e32 v38, v39, v10
	v_mov_b32_e32 v39, v11
; %bb.19:                               ;   in Loop: Header=BB7_4 Depth=1
	s_or_b64 exec, exec, s[56:57]
	s_nop 0
	v_mov_b32_dpp v10, v39 row_bcast:31 row_mask:0xf bank_mask:0xf
	v_mov_b32_dpp v11, v38 row_bcast:31 row_mask:0xf bank_mask:0xf
	s_and_saveexec_b64 s[56:57], s[16:17]
; %bb.20:                               ;   in Loop: Header=BB7_4 Depth=1
	v_fmac_f32_e32 v38, v39, v11
	v_mul_f32_e32 v39, v39, v10
; %bb.21:                               ;   in Loop: Header=BB7_4 Depth=1
	s_or_b64 exec, exec, s[56:57]
	s_and_saveexec_b64 s[56:57], s[12:13]
; %bb.22:                               ;   in Loop: Header=BB7_4 Depth=1
	ds_write2_b32 v18, v39, v38 offset1:1
; %bb.23:                               ;   in Loop: Header=BB7_4 Depth=1
	s_or_b64 exec, exec, s[56:57]
	s_waitcnt lgkmcnt(0)
	s_barrier
	s_and_saveexec_b64 s[56:57], s[8:9]
	s_cbranch_execz .LBB7_25
; %bb.24:                               ;   in Loop: Header=BB7_4 Depth=1
	ds_read2_b32 v[10:11], v23 offset1:1
	s_waitcnt lgkmcnt(0)
	s_nop 0
	v_mov_b32_dpp v40, v10 row_shr:1 row_mask:0xf bank_mask:0xf
	v_mov_b32_dpp v41, v11 row_shr:1 row_mask:0xf bank_mask:0xf
	v_fma_f32 v41, v10, v41, v11
	v_mul_f32_e32 v40, v10, v40
	v_cndmask_b32_e64 v10, v40, v10, s[28:29]
	v_cndmask_b32_e64 v11, v41, v11, s[28:29]
	ds_write2_b32 v23, v10, v11 offset1:1
.LBB7_25:                               ;   in Loop: Header=BB7_4 Depth=1
	s_or_b64 exec, exec, s[56:57]
	s_waitcnt lgkmcnt(0)
	s_barrier
                                        ; implicit-def: $vgpr11
	s_and_saveexec_b64 s[56:57], s[10:11]
	s_cbranch_execz .LBB7_27
; %bb.26:                               ;   in Loop: Header=BB7_4 Depth=1
	ds_read2_b32 v[10:11], v20 offset1:1
	s_waitcnt lgkmcnt(0)
	v_mul_f32_e32 v40, v39, v10
	v_fmac_f32_e32 v38, v39, v11
	v_mov_b32_e32 v39, v40
.LBB7_27:                               ;   in Loop: Header=BB7_4 Depth=1
	s_or_b64 exec, exec, s[56:57]
	ds_bpermute_b32 v39, v19, v39
	ds_bpermute_b32 v38, v19, v38
	s_and_saveexec_b64 s[56:57], s[4:5]
	s_cbranch_execz .LBB7_29
; %bb.28:                               ;   in Loop: Header=BB7_4 Depth=1
	s_waitcnt lgkmcnt(0)
	v_cndmask_b32_e64 v11, v38, v11, s[14:15]
	v_cndmask_b32_e64 v10, v39, v10, s[14:15]
	v_fmac_f32_e32 v25, v31, v11
	v_mul_f32_e32 v10, v31, v10
	v_fmac_f32_e32 v13, v25, v37
	v_mul_f32_e32 v26, v10, v37
	;; [unrolled: 2-line block ×4, first 2 shown]
	v_mov_b32_e32 v29, v34
	v_mov_b32_e32 v30, v33
	;; [unrolled: 1-line block ×4, first 2 shown]
	;;#ASMSTART
	;;#ASMEND
.LBB7_29:                               ;   in Loop: Header=BB7_4 Depth=1
	s_or_b64 exec, exec, s[56:57]
	buffer_store_dword v31, off, s[0:3], 0
	buffer_store_dword v25, off, s[0:3], 0 offset:4
	buffer_store_dword v26, off, s[0:3], 0 offset:8
	;; [unrolled: 1-line block ×7, first 2 shown]
	s_waitcnt vmcnt(0) lgkmcnt(0)
	s_barrier
	ds_read2_b32 v[12:13], v12 offset1:1
	ds_read2_b32 v[10:11], v24 offset1:1
	s_and_saveexec_b64 s[56:57], s[30:31]
	s_cbranch_execz .LBB7_3
; %bb.30:                               ;   in Loop: Header=BB7_4 Depth=1
	buffer_load_dword v24, v21, s[0:3], 0 offen
	buffer_load_dword v33, v21, s[0:3], 0 offen offset:4
	s_add_i32 s62, s7, s6
	s_ashr_i32 s63, s62, 31
	s_lshl_b64 s[62:63], s[62:63], 2
	s_add_u32 s64, s40, s62
	v_mov_b32_e32 v34, s66
	s_addc_u32 s65, s41, s63
	v_add_u32_e32 v34, 0x9000, v34
	s_add_u32 s62, s42, s62
	s_addc_u32 s63, s43, s63
	s_waitcnt vmcnt(1)
	v_mul_f32_e32 v8, v8, v24
	s_waitcnt vmcnt(0)
	v_fmac_f32_e32 v33, v9, v24
	global_store_dword v14, v8, s[64:65]
	global_store_dword v14, v33, s[62:63]
	ds_write2_b32 v34, v8, v33 offset0:4 offset1:12
	s_branch .LBB7_3
.LBB7_31:                               ;   in Loop: Header=BB7_4 Depth=1
                                        ; implicit-def: $sgpr62_sgpr63
                                        ; implicit-def: $vgpr8
	s_branch .LBB7_7
.LBB7_32:
	s_add_u32 s4, s38, s60
	s_addc_u32 s5, s39, s61
	s_add_u32 s4, s4, s44
	s_addc_u32 s5, s5, s45
	v_mov_b32_e32 v7, s5
	v_add_co_u32_e32 v5, vcc, s4, v5
	s_add_i32 s33, s33, -1
	v_addc_co_u32_e32 v6, vcc, v7, v6, vcc
	s_cmp_eq_u32 s7, s33
	s_cselect_b64 s[4:5], -1, 0
	v_cmp_gt_u32_e32 vcc, 8, v0
	s_and_b64 s[4:5], s[4:5], vcc
	global_store_dwordx4 v[5:6], v[1:4], off
	s_and_saveexec_b64 s[6:7], s[4:5]
	s_cbranch_execz .LBB7_34
; %bb.33:
	v_lshl_add_u32 v1, v0, 2, 0
	v_add_u32_e32 v0, s58, v0
	ds_read_b32 v2, v1 offset:36912
	v_ashrrev_i32_e32 v1, 31, v0
	v_lshlrev_b64 v[0:1], 2, v[0:1]
	v_mov_b32_e32 v3, s37
	v_add_co_u32_e32 v0, vcc, s36, v0
	v_addc_co_u32_e32 v1, vcc, v3, v1, vcc
	s_waitcnt lgkmcnt(0)
	global_store_dword v[0:1], v2, off
.LBB7_34:
	s_endpgm
	.section	.rodata,"a",@progbits
	.p2align	6, 0x0
	.amdhsa_kernel _Z26selective_scan_vllm_kernelI18SSMFwdKernelTraitsILi128ELi4ELi8ELb0ELb0ELb1EEEv13SSMParamsBase
		.amdhsa_group_segment_fixed_size 0
		.amdhsa_private_segment_fixed_size 48
		.amdhsa_kernarg_size 144
		.amdhsa_user_sgpr_count 6
		.amdhsa_user_sgpr_private_segment_buffer 1
		.amdhsa_user_sgpr_dispatch_ptr 0
		.amdhsa_user_sgpr_queue_ptr 0
		.amdhsa_user_sgpr_kernarg_segment_ptr 1
		.amdhsa_user_sgpr_dispatch_id 0
		.amdhsa_user_sgpr_flat_scratch_init 0
		.amdhsa_user_sgpr_private_segment_size 0
		.amdhsa_uses_dynamic_stack 0
		.amdhsa_system_sgpr_private_segment_wavefront_offset 1
		.amdhsa_system_sgpr_workgroup_id_x 1
		.amdhsa_system_sgpr_workgroup_id_y 1
		.amdhsa_system_sgpr_workgroup_id_z 0
		.amdhsa_system_sgpr_workgroup_info 0
		.amdhsa_system_vgpr_workitem_id 0
		.amdhsa_next_free_vgpr 42
		.amdhsa_next_free_sgpr 69
		.amdhsa_reserve_vcc 1
		.amdhsa_reserve_flat_scratch 0
		.amdhsa_float_round_mode_32 0
		.amdhsa_float_round_mode_16_64 0
		.amdhsa_float_denorm_mode_32 3
		.amdhsa_float_denorm_mode_16_64 3
		.amdhsa_dx10_clamp 1
		.amdhsa_ieee_mode 1
		.amdhsa_fp16_overflow 0
		.amdhsa_exception_fp_ieee_invalid_op 0
		.amdhsa_exception_fp_denorm_src 0
		.amdhsa_exception_fp_ieee_div_zero 0
		.amdhsa_exception_fp_ieee_overflow 0
		.amdhsa_exception_fp_ieee_underflow 0
		.amdhsa_exception_fp_ieee_inexact 0
		.amdhsa_exception_int_div_zero 0
	.end_amdhsa_kernel
	.section	.text._Z26selective_scan_vllm_kernelI18SSMFwdKernelTraitsILi128ELi4ELi8ELb0ELb0ELb1EEEv13SSMParamsBase,"axG",@progbits,_Z26selective_scan_vllm_kernelI18SSMFwdKernelTraitsILi128ELi4ELi8ELb0ELb0ELb1EEEv13SSMParamsBase,comdat
.Lfunc_end7:
	.size	_Z26selective_scan_vllm_kernelI18SSMFwdKernelTraitsILi128ELi4ELi8ELb0ELb0ELb1EEEv13SSMParamsBase, .Lfunc_end7-_Z26selective_scan_vllm_kernelI18SSMFwdKernelTraitsILi128ELi4ELi8ELb0ELb0ELb1EEEv13SSMParamsBase
                                        ; -- End function
	.set _Z26selective_scan_vllm_kernelI18SSMFwdKernelTraitsILi128ELi4ELi8ELb0ELb0ELb1EEEv13SSMParamsBase.num_vgpr, 42
	.set _Z26selective_scan_vllm_kernelI18SSMFwdKernelTraitsILi128ELi4ELi8ELb0ELb0ELb1EEEv13SSMParamsBase.num_agpr, 0
	.set _Z26selective_scan_vllm_kernelI18SSMFwdKernelTraitsILi128ELi4ELi8ELb0ELb0ELb1EEEv13SSMParamsBase.numbered_sgpr, 69
	.set _Z26selective_scan_vllm_kernelI18SSMFwdKernelTraitsILi128ELi4ELi8ELb0ELb0ELb1EEEv13SSMParamsBase.num_named_barrier, 0
	.set _Z26selective_scan_vllm_kernelI18SSMFwdKernelTraitsILi128ELi4ELi8ELb0ELb0ELb1EEEv13SSMParamsBase.private_seg_size, 48
	.set _Z26selective_scan_vllm_kernelI18SSMFwdKernelTraitsILi128ELi4ELi8ELb0ELb0ELb1EEEv13SSMParamsBase.uses_vcc, 1
	.set _Z26selective_scan_vllm_kernelI18SSMFwdKernelTraitsILi128ELi4ELi8ELb0ELb0ELb1EEEv13SSMParamsBase.uses_flat_scratch, 0
	.set _Z26selective_scan_vllm_kernelI18SSMFwdKernelTraitsILi128ELi4ELi8ELb0ELb0ELb1EEEv13SSMParamsBase.has_dyn_sized_stack, 0
	.set _Z26selective_scan_vllm_kernelI18SSMFwdKernelTraitsILi128ELi4ELi8ELb0ELb0ELb1EEEv13SSMParamsBase.has_recursion, 0
	.set _Z26selective_scan_vllm_kernelI18SSMFwdKernelTraitsILi128ELi4ELi8ELb0ELb0ELb1EEEv13SSMParamsBase.has_indirect_call, 0
	.section	.AMDGPU.csdata,"",@progbits
; Kernel info:
; codeLenInByte = 2188
; TotalNumSgprs: 73
; NumVgprs: 42
; ScratchSize: 48
; MemoryBound: 0
; FloatMode: 240
; IeeeMode: 1
; LDSByteSize: 0 bytes/workgroup (compile time only)
; SGPRBlocks: 9
; VGPRBlocks: 10
; NumSGPRsForWavesPerEU: 73
; NumVGPRsForWavesPerEU: 42
; Occupancy: 5
; WaveLimiterHint : 0
; COMPUTE_PGM_RSRC2:SCRATCH_EN: 1
; COMPUTE_PGM_RSRC2:USER_SGPR: 6
; COMPUTE_PGM_RSRC2:TRAP_HANDLER: 0
; COMPUTE_PGM_RSRC2:TGID_X_EN: 1
; COMPUTE_PGM_RSRC2:TGID_Y_EN: 1
; COMPUTE_PGM_RSRC2:TGID_Z_EN: 0
; COMPUTE_PGM_RSRC2:TIDIG_COMP_CNT: 0
	.section	.text._Z26selective_scan_vllm_kernelI18SSMFwdKernelTraitsILi128ELi4ELi8ELb0ELb0ELb0EEEv13SSMParamsBase,"axG",@progbits,_Z26selective_scan_vllm_kernelI18SSMFwdKernelTraitsILi128ELi4ELi8ELb0ELb0ELb0EEEv13SSMParamsBase,comdat
	.protected	_Z26selective_scan_vllm_kernelI18SSMFwdKernelTraitsILi128ELi4ELi8ELb0ELb0ELb0EEEv13SSMParamsBase ; -- Begin function _Z26selective_scan_vllm_kernelI18SSMFwdKernelTraitsILi128ELi4ELi8ELb0ELb0ELb0EEEv13SSMParamsBase
	.globl	_Z26selective_scan_vllm_kernelI18SSMFwdKernelTraitsILi128ELi4ELi8ELb0ELb0ELb0EEEv13SSMParamsBase
	.p2align	8
	.type	_Z26selective_scan_vllm_kernelI18SSMFwdKernelTraitsILi128ELi4ELi8ELb0ELb0ELb0EEEv13SSMParamsBase,@function
_Z26selective_scan_vllm_kernelI18SSMFwdKernelTraitsILi128ELi4ELi8ELb0ELb0ELb0EEEv13SSMParamsBase: ; @_Z26selective_scan_vllm_kernelI18SSMFwdKernelTraitsILi128ELi4ELi8ELb0ELb0ELb0EEEv13SSMParamsBase
; %bb.0:
	s_load_dwordx2 s[16:17], s[4:5], 0x4
	s_add_u32 s0, s0, s8
	s_addc_u32 s1, s1, 0
	s_load_dwordx8 s[48:55], s[4:5], 0x18
	s_load_dwordx4 s[64:67], s[4:5], 0x38
	s_load_dwordx2 s[8:9], s[4:5], 0x48
	s_load_dwordx2 s[40:41], s[4:5], 0x88
	s_load_dwordx4 s[68:71], s[4:5], 0x78
	s_waitcnt lgkmcnt(0)
	s_abs_i32 s13, s16
	v_cvt_f32_u32_e32 v1, s13
	s_sub_i32 s10, 0, s13
	s_abs_i32 s14, s6
	s_ashr_i32 s15, s6, 31
	v_rcp_iflag_f32_e32 v1, v1
	s_lshl_b32 s12, s7, 9
	s_ashr_i32 s18, s16, 31
	v_cmp_ne_u32_e64 s[44:45], 0, v0
	v_mul_f32_e32 v1, 0x4f7ffffe, v1
	v_cvt_u32_f32_e32 v1, v1
	v_cmp_eq_u32_e64 s[46:47], 0, v0
	v_readfirstlane_b32 s11, v1
	s_mul_i32 s10, s10, s11
	s_mul_hi_u32 s10, s11, s10
	s_add_i32 s11, s11, s10
	s_mul_hi_u32 s19, s14, s11
	s_and_saveexec_b64 s[10:11], s[46:47]
	s_cbranch_execz .LBB8_2
; %bb.1:
	s_add_i32 s20, s12, 0x200
	s_min_i32 s20, s20, s17
	s_not_b32 s21, s12
	s_add_i32 s20, s20, s21
	s_ashr_i32 s21, s20, 31
	s_lshr_b32 s21, s21, 30
	s_add_i32 s21, s20, s21
	s_ashr_i32 s22, s21, 2
	s_and_b32 s21, s21, -4
	s_sub_i32 s20, s20, s21
	v_mov_b32_e32 v1, s22
	v_mov_b32_e32 v2, s20
	v_mov_b32_e32 v3, 0
	ds_write_b64 v3, v[1:2] offset:36944
.LBB8_2:
	s_or_b64 exec, exec, s[10:11]
	s_mul_i32 s11, s19, s13
	s_sub_i32 s11, s14, s11
	s_xor_b32 s10, s15, s18
	s_add_i32 s14, s19, 1
	s_sub_i32 s15, s11, s13
	s_cmp_ge_u32 s11, s13
	s_cselect_b32 s14, s14, s19
	s_cselect_b32 s11, s15, s11
	s_add_i32 s15, s14, 1
	s_cmp_ge_u32 s11, s13
	s_cselect_b32 s11, s15, s14
	s_xor_b32 s11, s11, s10
	s_sub_i32 s74, s11, s10
	s_mul_i32 s10, s74, s16
	s_sub_i32 s42, s6, s10
	s_mul_i32 s10, s74, s68
	s_ashr_i32 s11, s10, 31
	s_lshl_b64 s[72:73], s[10:11], 2
	s_add_u32 s13, s48, s72
	s_mul_i32 s10, s42, s69
	s_addc_u32 s14, s49, s73
	s_ashr_i32 s11, s10, 31
	s_lshl_b64 s[48:49], s[10:11], 2
	v_mov_b32_e32 v6, 0
	s_add_u32 s25, s13, s48
	s_waitcnt lgkmcnt(0)
	s_barrier
	ds_read_b64 v[3:4], v6 offset:36944
	s_addc_u32 s27, s14, s49
	s_ashr_i32 s43, s42, 31
	v_lshlrev_b32_e32 v5, 2, v0
	s_lshl_b64 s[20:21], s[42:43], 2
	v_add_u32_e32 v1, s12, v5
	s_add_u32 s12, s8, s20
	s_addc_u32 s13, s9, s21
	v_cmp_le_i32_e64 s[10:11], s17, v1
	v_cmp_gt_i32_e64 s[8:9], s17, v1
	v_ashrrev_i32_e32 v2, 31, v1
	v_mov_b32_e32 v7, 0
	s_and_saveexec_b64 s[14:15], s[8:9]
	s_cbranch_execz .LBB8_4
; %bb.3:
	v_lshlrev_b64 v[7:8], 2, v[1:2]
	v_mov_b32_e32 v9, s27
	v_add_co_u32_e32 v7, vcc, s25, v7
	v_addc_co_u32_e32 v8, vcc, v9, v8, vcc
	global_load_dword v7, v[7:8], off
.LBB8_4:
	s_or_b64 exec, exec, s[14:15]
	s_load_dword s24, s[12:13], 0x0
	s_add_u32 s12, s50, s72
	s_addc_u32 s13, s51, s73
	s_add_u32 s26, s12, s48
	s_addc_u32 s28, s13, s49
	s_and_saveexec_b64 s[12:13], s[8:9]
	s_cbranch_execz .LBB8_6
; %bb.5:
	v_lshlrev_b64 v[8:9], 2, v[1:2]
	v_mov_b32_e32 v6, s28
	v_add_co_u32_e32 v8, vcc, s26, v8
	v_addc_co_u32_e32 v9, vcc, v6, v9, vcc
	global_load_dword v6, v[8:9], off
.LBB8_6:
	s_or_b64 exec, exec, s[12:13]
	v_lshl_add_u32 v9, v5, 2, 0
	s_waitcnt vmcnt(0) lgkmcnt(0)
	v_add_f32_e32 v6, s24, v6
	v_add_u32_e32 v5, 16, v9
	ds_write2st64_b32 v5, v7, v6 offset1:8
	v_or_b32_e32 v5, 1, v1
	v_cmp_gt_i32_e64 s[12:13], s17, v5
	v_mov_b32_e32 v6, 0
	v_mov_b32_e32 v5, 0
	s_and_saveexec_b64 s[14:15], s[12:13]
	s_cbranch_execz .LBB8_8
; %bb.7:
	v_lshlrev_b64 v[7:8], 2, v[1:2]
	v_mov_b32_e32 v5, s27
	v_add_co_u32_e32 v7, vcc, s25, v7
	v_addc_co_u32_e32 v8, vcc, v5, v8, vcc
	global_load_dword v5, v[7:8], off offset:4
.LBB8_8:
	s_or_b64 exec, exec, s[14:15]
	s_and_saveexec_b64 s[14:15], s[12:13]
	s_cbranch_execz .LBB8_10
; %bb.9:
	v_lshlrev_b64 v[6:7], 2, v[1:2]
	v_mov_b32_e32 v8, s28
	v_add_co_u32_e32 v6, vcc, s26, v6
	v_addc_co_u32_e32 v7, vcc, v8, v7, vcc
	global_load_dword v6, v[6:7], off offset:4
.LBB8_10:
	s_or_b64 exec, exec, s[14:15]
	s_waitcnt vmcnt(0)
	v_add_f32_e32 v6, s24, v6
	v_add_u32_e32 v7, 20, v9
	ds_write2st64_b32 v7, v5, v6 offset1:8
	v_or_b32_e32 v5, 2, v1
	v_cmp_gt_i32_e64 s[14:15], s17, v5
	v_mov_b32_e32 v6, 0
	v_mov_b32_e32 v5, 0
	s_and_saveexec_b64 s[18:19], s[14:15]
	s_cbranch_execz .LBB8_12
; %bb.11:
	v_lshlrev_b64 v[7:8], 2, v[1:2]
	v_mov_b32_e32 v5, s27
	v_add_co_u32_e32 v7, vcc, s25, v7
	v_addc_co_u32_e32 v8, vcc, v5, v8, vcc
	global_load_dword v5, v[7:8], off offset:8
.LBB8_12:
	s_or_b64 exec, exec, s[18:19]
	s_and_saveexec_b64 s[18:19], s[14:15]
	s_cbranch_execz .LBB8_14
; %bb.13:
	v_lshlrev_b64 v[6:7], 2, v[1:2]
	v_mov_b32_e32 v8, s28
	v_add_co_u32_e32 v6, vcc, s26, v6
	v_addc_co_u32_e32 v7, vcc, v8, v7, vcc
	global_load_dword v6, v[6:7], off offset:8
.LBB8_14:
	s_or_b64 exec, exec, s[18:19]
	s_waitcnt vmcnt(0)
	v_add_f32_e32 v6, s24, v6
	v_add_u32_e32 v7, 24, v9
	ds_write2st64_b32 v7, v5, v6 offset1:8
	v_or_b32_e32 v5, 3, v1
	v_cmp_le_i32_e32 vcc, s17, v5
	v_cmp_gt_i32_e64 s[16:17], s17, v5
	v_mov_b32_e32 v5, 0
	s_and_saveexec_b64 s[22:23], s[16:17]
	s_cbranch_execz .LBB8_16
; %bb.15:
	v_lshlrev_b64 v[5:6], 2, v[1:2]
	v_mov_b32_e32 v7, s27
	v_add_co_u32_e64 v5, s[18:19], s25, v5
	v_addc_co_u32_e64 v6, s[18:19], v7, v6, s[18:19]
	global_load_dword v5, v[5:6], off offset:12
.LBB8_16:
	s_or_b64 exec, exec, s[22:23]
	s_and_saveexec_b64 s[18:19], vcc
	s_xor_b64 s[18:19], exec, s[18:19]
	s_or_saveexec_b64 s[18:19], s[18:19]
	s_load_dword s33, s[4:5], 0x10
	s_load_dwordx8 s[56:63], s[4:5], 0x58
	v_mov_b32_e32 v11, 0
	v_mov_b32_e32 v6, 0
	s_xor_b64 exec, exec, s[18:19]
	s_cbranch_execz .LBB8_18
; %bb.17:
	v_lshlrev_b64 v[6:7], 2, v[1:2]
	v_mov_b32_e32 v8, s28
	v_add_co_u32_e32 v6, vcc, s26, v6
	v_addc_co_u32_e32 v7, vcc, v8, v7, vcc
	global_load_dword v6, v[6:7], off offset:12
.LBB8_18:
	s_or_b64 exec, exec, s[18:19]
	s_add_u32 s4, s66, s20
	s_waitcnt vmcnt(0)
	v_add_f32_e32 v6, s24, v6
	v_add_u32_e32 v7, 28, v9
	s_addc_u32 s5, s67, s21
	ds_write2st64_b32 v7, v5, v6 offset1:8
	s_waitcnt lgkmcnt(0)
	s_barrier
	s_load_dword s4, s[4:5], 0x0
	ds_read2_b32 v[5:6], v9 offset0:4 offset1:5
	ds_read2_b32 v[7:8], v9 offset0:6 offset1:7
	s_lshl_b32 s50, s42, 3
	s_cmp_lg_u32 s7, 0
	s_mul_i32 s76, s74, s70
	s_waitcnt lgkmcnt(0)
	v_mul_f32_e32 v14, s4, v5
	v_mbcnt_lo_u32_b32 v5, -1, 0
	v_mbcnt_hi_u32_b32 v5, -1, v5
	v_mul_f32_e32 v13, s4, v6
	v_and_b32_e32 v6, 15, v5
	v_cmp_ne_u32_e64 s[18:19], 0, v6
	v_cmp_lt_u32_e64 s[20:21], 1, v6
	v_cmp_lt_u32_e64 s[22:23], 3, v6
	;; [unrolled: 1-line block ×3, first 2 shown]
	v_and_b32_e32 v6, 16, v5
	v_cmp_ne_u32_e64 s[26:27], 0, v6
	v_or_b32_e32 v6, 63, v0
	v_mul_f32_e32 v12, s4, v7
	v_cmp_eq_u32_e64 s[30:31], v0, v6
	v_subrev_co_u32_e64 v6, s[38:39], 1, v5
	v_and_b32_e32 v7, 64, v5
	v_cmp_lt_i32_e32 vcc, v6, v7
	v_cndmask_b32_e32 v6, v6, v5, vcc
	v_lshlrev_b32_e32 v15, 2, v6
	v_lshrrev_b32_e32 v6, 3, v0
	v_mul_f32_e32 v10, s4, v8
	s_cselect_b64 s[4:5], -1, 0
	s_mul_i32 s74, s74, s40
	s_mul_i32 s70, s42, s41
	v_and_b32_e32 v6, 8, v6
	s_mul_i32 s6, s6, s33
	s_ashr_i32 s51, s50, 31
	s_add_i32 s70, s70, s74
	v_add_u32_e32 v16, 0, v6
	v_lshlrev_b32_e32 v6, 3, v0
	v_cmp_eq_u32_e64 s[42:43], v0, v3
	v_lshlrev_b32_e32 v3, 3, v4
	s_ashr_i32 s78, s7, 31
	s_lshl_b32 s6, s6, 3
	s_lshl_b64 s[50:51], s[50:51], 2
	v_cmp_lt_u32_e64 s[28:29], 31, v5
	v_sub_u32_e32 v6, 0, v6
	v_and_b32_e32 v5, 1, v5
	v_mov_b32_e32 v18, v3
	v_mov_b32_e32 v3, 0x1010
	s_add_u32 s50, s52, s50
	s_mov_b32 s77, 0
	v_cmp_gt_u32_e64 s[34:35], 2, v0
	v_cmp_lt_u32_e64 s[36:37], 63, v0
	v_cmp_eq_u32_e64 s[40:41], 0, v5
	v_add_u32_e32 v17, -8, v16
	v_lshl_add_u32 v19, v0, 4, v3
	s_addc_u32 s51, s53, s51
	v_add_u32_e32 v20, v9, v6
	s_mov_b32 s52, s70
	s_branch .LBB8_20
.LBB8_19:                               ;   in Loop: Header=BB8_20 Depth=1
	s_or_b64 exec, exec, s[66:67]
	s_add_i32 s77, s77, 4
	s_add_i32 s76, s76, s71
	;; [unrolled: 1-line block ×4, first 2 shown]
	s_add_u32 s50, s50, 4
	v_fmac_f32_e32 v21, v4, v27
	v_fmac_f32_e32 v28, v4, v22
	;; [unrolled: 1-line block ×4, first 2 shown]
	s_addc_u32 s51, s51, 0
	s_waitcnt lgkmcnt(1)
	v_fmac_f32_e32 v14, v7, v21
	v_fmac_f32_e32 v13, v8, v28
	s_waitcnt lgkmcnt(0)
	v_fmac_f32_e32 v12, v5, v26
	v_fmac_f32_e32 v10, v6, v25
	s_cmp_eq_u32 s77, 32
	v_add_u32_e32 v19, 0x800, v19
	s_waitcnt vmcnt(0)
	s_barrier
	s_cbranch_scc1 .LBB8_64
.LBB8_20:                               ; =>This Inner Loop Header: Depth=1
	s_and_saveexec_b64 s[66:67], s[46:47]
	s_cbranch_execz .LBB8_25
; %bb.21:                               ;   in Loop: Header=BB8_20 Depth=1
	s_and_b64 vcc, exec, s[4:5]
	s_cbranch_vccz .LBB8_63
; %bb.22:                               ;   in Loop: Header=BB8_20 Depth=1
	s_ashr_i32 s53, s6, 31
	s_add_u32 s68, s7, s6
	s_addc_u32 s69, s78, s53
	s_lshl_b64 s[68:69], s[68:69], 2
	s_add_u32 s74, s60, s68
	s_addc_u32 s75, s61, s69
	global_load_dword v3, v11, s[74:75] offset:-4
	s_add_u32 s53, s62, s68
	s_addc_u32 s69, s63, s69
	s_add_u32 s68, s53, -4
	s_addc_u32 s69, s69, -1
	s_cbranch_execnz .LBB8_24
.LBB8_23:                               ;   in Loop: Header=BB8_20 Depth=1
	s_ashr_i32 s53, s52, 31
	s_lshl_b64 s[68:69], s[52:53], 2
	s_add_u32 s68, s56, s68
	s_addc_u32 s69, s57, s69
	s_waitcnt vmcnt(0)
	v_mov_b32_e32 v3, 1.0
.LBB8_24:                               ;   in Loop: Header=BB8_20 Depth=1
	global_load_dword v4, v11, s[68:69]
	s_add_i32 s53, s77, 0
	v_mov_b32_e32 v5, s53
	v_add_u32_e32 v5, 0x9000, v5
	s_waitcnt vmcnt(0)
	ds_write2_b32 v5, v3, v4 offset0:4 offset1:12
.LBB8_25:                               ;   in Loop: Header=BB8_20 Depth=1
	s_or_b64 exec, exec, s[66:67]
	v_add_u32_e32 v7, 0, v19
	s_and_saveexec_b64 s[66:67], s[10:11]
	s_xor_b64 s[66:67], exec, s[66:67]
; %bb.26:                               ;   in Loop: Header=BB8_20 Depth=1
	ds_write_b32 v7, v11
; %bb.27:                               ;   in Loop: Header=BB8_20 Depth=1
	s_or_saveexec_b64 s[66:67], s[66:67]
	v_mov_b32_e32 v3, 0
	v_mov_b32_e32 v4, 0
	s_xor_b64 exec, exec, s[66:67]
	s_cbranch_execz .LBB8_29
; %bb.28:                               ;   in Loop: Header=BB8_20 Depth=1
	v_add_u32_e32 v4, s76, v1
	v_ashrrev_i32_e32 v5, 31, v4
	v_lshlrev_b64 v[4:5], 2, v[4:5]
	v_mov_b32_e32 v6, s55
	v_add_co_u32_e32 v21, vcc, s54, v4
	v_addc_co_u32_e32 v22, vcc, v6, v5, vcc
	v_mov_b32_e32 v8, s65
	v_add_co_u32_e32 v4, vcc, s64, v4
	v_addc_co_u32_e32 v5, vcc, v8, v5, vcc
	global_load_dword v6, v[21:22], off
	s_waitcnt vmcnt(0)
	ds_write_b32 v7, v6
	global_load_dword v4, v[4:5], off
.LBB8_29:                               ;   in Loop: Header=BB8_20 Depth=1
	s_or_b64 exec, exec, s[66:67]
	s_waitcnt vmcnt(0)
	ds_write_b32 v7, v4 offset:16384
	s_and_saveexec_b64 s[66:67], s[12:13]
	s_cbranch_execz .LBB8_31
; %bb.30:                               ;   in Loop: Header=BB8_20 Depth=1
	s_ashr_i32 s53, s76, 31
	v_mov_b32_e32 v4, s53
	v_add_co_u32_e32 v3, vcc, s76, v1
	v_addc_co_u32_e32 v4, vcc, v4, v2, vcc
	v_lshlrev_b64 v[3:4], 2, v[3:4]
	v_mov_b32_e32 v5, s55
	v_add_co_u32_e32 v3, vcc, s54, v3
	v_addc_co_u32_e32 v4, vcc, v5, v4, vcc
	global_load_dword v3, v[3:4], off offset:4
.LBB8_31:                               ;   in Loop: Header=BB8_20 Depth=1
	s_or_b64 exec, exec, s[66:67]
	s_waitcnt vmcnt(0)
	ds_write_b32 v7, v3 offset:4
	v_mov_b32_e32 v3, 0
	v_mov_b32_e32 v4, 0
	s_and_saveexec_b64 s[66:67], s[12:13]
	s_cbranch_execz .LBB8_33
; %bb.32:                               ;   in Loop: Header=BB8_20 Depth=1
	s_ashr_i32 s53, s76, 31
	v_mov_b32_e32 v5, s53
	v_add_co_u32_e32 v4, vcc, s76, v1
	v_addc_co_u32_e32 v5, vcc, v5, v2, vcc
	v_lshlrev_b64 v[4:5], 2, v[4:5]
	v_mov_b32_e32 v6, s65
	v_add_co_u32_e32 v4, vcc, s64, v4
	v_addc_co_u32_e32 v5, vcc, v6, v5, vcc
	global_load_dword v4, v[4:5], off offset:4
.LBB8_33:                               ;   in Loop: Header=BB8_20 Depth=1
	s_or_b64 exec, exec, s[66:67]
	s_waitcnt vmcnt(0)
	ds_write_b32 v7, v4 offset:16388
	s_and_saveexec_b64 s[66:67], s[14:15]
	s_cbranch_execz .LBB8_35
; %bb.34:                               ;   in Loop: Header=BB8_20 Depth=1
	s_ashr_i32 s53, s76, 31
	v_mov_b32_e32 v4, s53
	v_add_co_u32_e32 v3, vcc, s76, v1
	v_addc_co_u32_e32 v4, vcc, v4, v2, vcc
	v_lshlrev_b64 v[3:4], 2, v[3:4]
	v_mov_b32_e32 v5, s55
	v_add_co_u32_e32 v3, vcc, s54, v3
	v_addc_co_u32_e32 v4, vcc, v5, v4, vcc
	global_load_dword v3, v[3:4], off offset:8
.LBB8_35:                               ;   in Loop: Header=BB8_20 Depth=1
	s_or_b64 exec, exec, s[66:67]
	s_waitcnt vmcnt(0)
	ds_write_b32 v7, v3 offset:8
	v_mov_b32_e32 v3, 0
	v_mov_b32_e32 v4, 0
	s_and_saveexec_b64 s[66:67], s[14:15]
	s_cbranch_execz .LBB8_37
; %bb.36:                               ;   in Loop: Header=BB8_20 Depth=1
	s_ashr_i32 s53, s76, 31
	v_mov_b32_e32 v5, s53
	v_add_co_u32_e32 v4, vcc, s76, v1
	v_addc_co_u32_e32 v5, vcc, v5, v2, vcc
	v_lshlrev_b64 v[4:5], 2, v[4:5]
	v_mov_b32_e32 v6, s65
	v_add_co_u32_e32 v4, vcc, s64, v4
	v_addc_co_u32_e32 v5, vcc, v6, v5, vcc
	global_load_dword v4, v[4:5], off offset:8
.LBB8_37:                               ;   in Loop: Header=BB8_20 Depth=1
	s_or_b64 exec, exec, s[66:67]
	s_waitcnt vmcnt(0)
	ds_write_b32 v7, v4 offset:16392
	s_and_saveexec_b64 s[66:67], s[16:17]
	s_cbranch_execz .LBB8_39
; %bb.38:                               ;   in Loop: Header=BB8_20 Depth=1
	s_ashr_i32 s53, s76, 31
	v_mov_b32_e32 v4, s53
	v_add_co_u32_e32 v3, vcc, s76, v1
	v_addc_co_u32_e32 v4, vcc, v4, v2, vcc
	v_lshlrev_b64 v[3:4], 2, v[3:4]
	v_mov_b32_e32 v5, s55
	v_add_co_u32_e32 v3, vcc, s54, v3
	v_addc_co_u32_e32 v4, vcc, v5, v4, vcc
	global_load_dword v3, v[3:4], off offset:12
.LBB8_39:                               ;   in Loop: Header=BB8_20 Depth=1
	s_or_b64 exec, exec, s[66:67]
	s_waitcnt vmcnt(0)
	ds_write_b32 v7, v3 offset:12
	v_mov_b32_e32 v3, 0
	s_and_saveexec_b64 s[66:67], s[16:17]
	s_cbranch_execz .LBB8_41
; %bb.40:                               ;   in Loop: Header=BB8_20 Depth=1
	s_ashr_i32 s53, s76, 31
	v_mov_b32_e32 v4, s53
	v_add_co_u32_e32 v3, vcc, s76, v1
	v_addc_co_u32_e32 v4, vcc, v4, v2, vcc
	v_lshlrev_b64 v[3:4], 2, v[3:4]
	v_mov_b32_e32 v5, s65
	v_add_co_u32_e32 v3, vcc, s64, v3
	v_addc_co_u32_e32 v4, vcc, v5, v4, vcc
	global_load_dword v3, v[3:4], off offset:12
.LBB8_41:                               ;   in Loop: Header=BB8_20 Depth=1
	s_or_b64 exec, exec, s[66:67]
	s_waitcnt vmcnt(0)
	ds_write_b32 v7, v3 offset:16396
	s_waitcnt lgkmcnt(0)
	s_barrier
	global_load_dword v33, v11, s[50:51]
	v_add_u32_e32 v3, 0x810, v9
	v_add_u32_e32 v4, 0x818, v9
	ds_read2_b32 v[5:6], v9 offset0:4 offset1:5
	ds_read2_b32 v[22:23], v9 offset0:6 offset1:7
	ds_read2_b32 v[24:25], v7 offset1:1
	ds_read2_b32 v[26:27], v3 offset1:1
	ds_read2_b32 v[28:29], v7 offset0:2 offset1:3
	ds_read2_b32 v[31:32], v4 offset1:1
	s_add_i32 s53, s77, 0
	v_mov_b32_e32 v8, s53
	v_add_u32_e32 v3, 0x9000, v8
	s_waitcnt lgkmcnt(2)
	v_mul_f32_e32 v8, v26, v24
	v_mul_f32_e32 v24, v27, v25
	s_waitcnt lgkmcnt(0)
	v_mul_f32_e32 v25, v31, v28
	v_mul_f32_e32 v21, v5, v8
	;; [unrolled: 1-line block ×6, first 2 shown]
	ds_read2_b32 v[3:4], v3 offset0:4 offset1:12
	s_waitcnt vmcnt(0)
	v_mul_f32_e32 v5, v26, v33
	v_mul_f32_e32 v6, v27, v33
	;; [unrolled: 1-line block ×7, first 2 shown]
	v_exp_f32_e32 v27, v5
	v_exp_f32_e32 v33, v6
	v_mul_f32_e32 v5, 0x3fb8aa3b, v23
	v_exp_f32_e32 v32, v22
	v_exp_f32_e32 v31, v5
	v_mul_f32_e32 v22, v27, v33
	v_fma_f32 v28, v21, v33, v8
	v_mul_f32_e32 v23, v22, v32
	v_fma_f32 v26, v28, v32, v29
	;; [unrolled: 2-line block ×3, first 2 shown]
	v_mov_b32_e32 v34, v25
	v_mov_b32_dpp v6, v24 row_shr:1 row_mask:0xf bank_mask:0xf
	v_mov_b32_dpp v5, v25 row_shr:1 row_mask:0xf bank_mask:0xf
	v_mov_b32_e32 v35, v24
	s_and_saveexec_b64 s[66:67], s[18:19]
; %bb.42:                               ;   in Loop: Header=BB8_20 Depth=1
	v_mov_b32_e32 v34, v25
	v_mul_f32_e32 v35, v24, v6
	v_fmac_f32_e32 v34, v24, v5
; %bb.43:                               ;   in Loop: Header=BB8_20 Depth=1
	s_or_b64 exec, exec, s[66:67]
	v_mov_b32_dpp v6, v35 row_shr:2 row_mask:0xf bank_mask:0xf
	v_mov_b32_dpp v5, v34 row_shr:2 row_mask:0xf bank_mask:0xf
	s_and_saveexec_b64 s[66:67], s[20:21]
; %bb.44:                               ;   in Loop: Header=BB8_20 Depth=1
	v_mul_f32_e32 v6, v35, v6
	v_fmac_f32_e32 v34, v35, v5
	v_mov_b32_e32 v35, v6
; %bb.45:                               ;   in Loop: Header=BB8_20 Depth=1
	s_or_b64 exec, exec, s[66:67]
	s_nop 0
	v_mov_b32_dpp v6, v35 row_shr:4 row_mask:0xf bank_mask:0xf
	v_mov_b32_dpp v5, v34 row_shr:4 row_mask:0xf bank_mask:0xf
	s_and_saveexec_b64 s[66:67], s[22:23]
; %bb.46:                               ;   in Loop: Header=BB8_20 Depth=1
	v_mul_f32_e32 v6, v35, v6
	v_fmac_f32_e32 v34, v35, v5
	v_mov_b32_e32 v35, v6
; %bb.47:                               ;   in Loop: Header=BB8_20 Depth=1
	s_or_b64 exec, exec, s[66:67]
	s_nop 0
	;; [unrolled: 10-line block ×3, first 2 shown]
	v_mov_b32_dpp v6, v35 row_bcast:15 row_mask:0xf bank_mask:0xf
	v_mov_b32_dpp v5, v34 row_bcast:15 row_mask:0xf bank_mask:0xf
	s_and_saveexec_b64 s[66:67], s[26:27]
; %bb.50:                               ;   in Loop: Header=BB8_20 Depth=1
	v_mul_f32_e32 v6, v35, v6
	v_fmac_f32_e32 v34, v35, v5
	v_mov_b32_e32 v35, v6
; %bb.51:                               ;   in Loop: Header=BB8_20 Depth=1
	s_or_b64 exec, exec, s[66:67]
	s_nop 0
	v_mov_b32_dpp v5, v35 row_bcast:31 row_mask:0xf bank_mask:0xf
	v_mov_b32_dpp v6, v34 row_bcast:31 row_mask:0xf bank_mask:0xf
	s_and_saveexec_b64 s[66:67], s[28:29]
; %bb.52:                               ;   in Loop: Header=BB8_20 Depth=1
	v_fmac_f32_e32 v34, v35, v6
	v_mul_f32_e32 v35, v35, v5
; %bb.53:                               ;   in Loop: Header=BB8_20 Depth=1
	s_or_b64 exec, exec, s[66:67]
	s_and_saveexec_b64 s[66:67], s[30:31]
; %bb.54:                               ;   in Loop: Header=BB8_20 Depth=1
	ds_write2_b32 v16, v35, v34 offset1:1
; %bb.55:                               ;   in Loop: Header=BB8_20 Depth=1
	s_or_b64 exec, exec, s[66:67]
	s_waitcnt lgkmcnt(0)
	s_barrier
	s_and_saveexec_b64 s[66:67], s[34:35]
	s_cbranch_execz .LBB8_57
; %bb.56:                               ;   in Loop: Header=BB8_20 Depth=1
	ds_read2_b32 v[5:6], v20 offset1:1
	s_waitcnt lgkmcnt(0)
	s_nop 0
	v_mov_b32_dpp v36, v5 row_shr:1 row_mask:0xf bank_mask:0xf
	v_mov_b32_dpp v37, v6 row_shr:1 row_mask:0xf bank_mask:0xf
	v_fma_f32 v37, v5, v37, v6
	v_mul_f32_e32 v36, v5, v36
	v_cndmask_b32_e64 v5, v36, v5, s[40:41]
	v_cndmask_b32_e64 v6, v37, v6, s[40:41]
	ds_write2_b32 v20, v5, v6 offset1:1
.LBB8_57:                               ;   in Loop: Header=BB8_20 Depth=1
	s_or_b64 exec, exec, s[66:67]
	s_waitcnt lgkmcnt(0)
	s_barrier
                                        ; implicit-def: $vgpr6
	s_and_saveexec_b64 s[66:67], s[36:37]
	s_cbranch_execz .LBB8_59
; %bb.58:                               ;   in Loop: Header=BB8_20 Depth=1
	ds_read2_b32 v[5:6], v17 offset1:1
	s_waitcnt lgkmcnt(0)
	v_mul_f32_e32 v36, v35, v5
	v_fmac_f32_e32 v34, v35, v6
	v_mov_b32_e32 v35, v36
.LBB8_59:                               ;   in Loop: Header=BB8_20 Depth=1
	s_or_b64 exec, exec, s[66:67]
	ds_bpermute_b32 v35, v15, v35
	ds_bpermute_b32 v34, v15, v34
	s_and_saveexec_b64 s[66:67], s[44:45]
	s_cbranch_execz .LBB8_61
; %bb.60:                               ;   in Loop: Header=BB8_20 Depth=1
	s_waitcnt lgkmcnt(0)
	v_cndmask_b32_e64 v6, v34, v6, s[38:39]
	v_cndmask_b32_e64 v5, v35, v5, s[38:39]
	v_fmac_f32_e32 v21, v27, v6
	v_mul_f32_e32 v5, v27, v5
	v_fmac_f32_e32 v8, v21, v33
	v_mul_f32_e32 v22, v5, v33
	;; [unrolled: 2-line block ×4, first 2 shown]
	v_mov_b32_e32 v25, v30
	v_mov_b32_e32 v26, v29
	;; [unrolled: 1-line block ×4, first 2 shown]
	;;#ASMSTART
	;;#ASMEND
.LBB8_61:                               ;   in Loop: Header=BB8_20 Depth=1
	s_or_b64 exec, exec, s[66:67]
	v_add_u32_e32 v5, 0x4000, v7
	v_add_u32_e32 v6, 0x4008, v7
	buffer_store_dword v27, off, s[0:3], 0
	buffer_store_dword v21, off, s[0:3], 0 offset:4
	buffer_store_dword v22, off, s[0:3], 0 offset:8
	;; [unrolled: 1-line block ×7, first 2 shown]
	s_waitcnt vmcnt(0) lgkmcnt(0)
	s_barrier
	ds_read2_b32 v[7:8], v5 offset1:1
	ds_read2_b32 v[5:6], v6 offset1:1
	s_and_saveexec_b64 s[66:67], s[42:43]
	s_cbranch_execz .LBB8_19
; %bb.62:                               ;   in Loop: Header=BB8_20 Depth=1
	buffer_load_dword v29, v18, s[0:3], 0 offen
	buffer_load_dword v30, v18, s[0:3], 0 offen offset:4
	s_add_i32 s68, s7, s6
	s_ashr_i32 s69, s68, 31
	s_lshl_b64 s[68:69], s[68:69], 2
	s_add_u32 s74, s60, s68
	v_mov_b32_e32 v31, s53
	s_addc_u32 s75, s61, s69
	v_add_u32_e32 v31, 0x9000, v31
	s_add_u32 s68, s62, s68
	s_addc_u32 s69, s63, s69
	s_waitcnt vmcnt(1)
	v_mul_f32_e32 v3, v3, v29
	s_waitcnt vmcnt(0)
	v_fmac_f32_e32 v30, v4, v29
	global_store_dword v11, v3, s[74:75]
	global_store_dword v11, v30, s[68:69]
	ds_write2_b32 v31, v3, v30 offset0:4 offset1:12
	s_branch .LBB8_19
.LBB8_63:                               ;   in Loop: Header=BB8_20 Depth=1
                                        ; implicit-def: $sgpr68_sgpr69
                                        ; implicit-def: $vgpr3
	s_branch .LBB8_23
.LBB8_64:
	s_add_u32 s4, s58, s72
	s_addc_u32 s5, s59, s73
	s_add_u32 s6, s4, s48
	v_lshlrev_b64 v[1:2], 2, v[1:2]
	s_addc_u32 s10, s5, s49
	s_and_saveexec_b64 s[4:5], s[8:9]
	s_cbranch_execnz .LBB8_72
; %bb.65:
	s_or_b64 exec, exec, s[4:5]
	s_and_saveexec_b64 s[4:5], s[12:13]
	s_cbranch_execnz .LBB8_73
.LBB8_66:
	s_or_b64 exec, exec, s[4:5]
	s_and_saveexec_b64 s[4:5], s[14:15]
	s_cbranch_execnz .LBB8_74
.LBB8_67:
	s_or_b64 exec, exec, s[4:5]
	s_and_saveexec_b64 s[4:5], s[16:17]
	s_cbranch_execz .LBB8_69
.LBB8_68:
	v_mov_b32_e32 v3, s10
	v_add_co_u32_e32 v1, vcc, s6, v1
	v_addc_co_u32_e32 v2, vcc, v3, v2, vcc
	global_store_dword v[1:2], v10, off offset:12
.LBB8_69:
	s_or_b64 exec, exec, s[4:5]
	s_add_i32 s33, s33, -1
	s_cmp_eq_u32 s7, s33
	s_cselect_b64 s[4:5], -1, 0
	v_cmp_gt_u32_e32 vcc, 8, v0
	s_and_b64 s[4:5], s[4:5], vcc
	s_and_saveexec_b64 s[6:7], s[4:5]
	s_cbranch_execz .LBB8_71
; %bb.70:
	v_lshl_add_u32 v1, v0, 2, 0
	v_add_u32_e32 v0, s70, v0
	ds_read_b32 v2, v1 offset:36912
	v_ashrrev_i32_e32 v1, 31, v0
	v_lshlrev_b64 v[0:1], 2, v[0:1]
	v_mov_b32_e32 v3, s57
	v_add_co_u32_e32 v0, vcc, s56, v0
	v_addc_co_u32_e32 v1, vcc, v3, v1, vcc
	s_waitcnt lgkmcnt(0)
	global_store_dword v[0:1], v2, off
.LBB8_71:
	s_endpgm
.LBB8_72:
	v_mov_b32_e32 v4, s10
	v_add_co_u32_e32 v3, vcc, s6, v1
	v_addc_co_u32_e32 v4, vcc, v4, v2, vcc
	global_store_dword v[3:4], v14, off
	s_or_b64 exec, exec, s[4:5]
	s_and_saveexec_b64 s[4:5], s[12:13]
	s_cbranch_execz .LBB8_66
.LBB8_73:
	v_mov_b32_e32 v4, s10
	v_add_co_u32_e32 v3, vcc, s6, v1
	v_addc_co_u32_e32 v4, vcc, v4, v2, vcc
	global_store_dword v[3:4], v13, off offset:4
	s_or_b64 exec, exec, s[4:5]
	s_and_saveexec_b64 s[4:5], s[14:15]
	s_cbranch_execz .LBB8_67
.LBB8_74:
	v_mov_b32_e32 v4, s10
	v_add_co_u32_e32 v3, vcc, s6, v1
	v_addc_co_u32_e32 v4, vcc, v4, v2, vcc
	global_store_dword v[3:4], v12, off offset:8
	s_or_b64 exec, exec, s[4:5]
	s_and_saveexec_b64 s[4:5], s[16:17]
	s_cbranch_execnz .LBB8_68
	s_branch .LBB8_69
	.section	.rodata,"a",@progbits
	.p2align	6, 0x0
	.amdhsa_kernel _Z26selective_scan_vllm_kernelI18SSMFwdKernelTraitsILi128ELi4ELi8ELb0ELb0ELb0EEEv13SSMParamsBase
		.amdhsa_group_segment_fixed_size 0
		.amdhsa_private_segment_fixed_size 48
		.amdhsa_kernarg_size 144
		.amdhsa_user_sgpr_count 6
		.amdhsa_user_sgpr_private_segment_buffer 1
		.amdhsa_user_sgpr_dispatch_ptr 0
		.amdhsa_user_sgpr_queue_ptr 0
		.amdhsa_user_sgpr_kernarg_segment_ptr 1
		.amdhsa_user_sgpr_dispatch_id 0
		.amdhsa_user_sgpr_flat_scratch_init 0
		.amdhsa_user_sgpr_private_segment_size 0
		.amdhsa_uses_dynamic_stack 0
		.amdhsa_system_sgpr_private_segment_wavefront_offset 1
		.amdhsa_system_sgpr_workgroup_id_x 1
		.amdhsa_system_sgpr_workgroup_id_y 1
		.amdhsa_system_sgpr_workgroup_id_z 0
		.amdhsa_system_sgpr_workgroup_info 0
		.amdhsa_system_vgpr_workitem_id 0
		.amdhsa_next_free_vgpr 38
		.amdhsa_next_free_sgpr 79
		.amdhsa_reserve_vcc 1
		.amdhsa_reserve_flat_scratch 0
		.amdhsa_float_round_mode_32 0
		.amdhsa_float_round_mode_16_64 0
		.amdhsa_float_denorm_mode_32 3
		.amdhsa_float_denorm_mode_16_64 3
		.amdhsa_dx10_clamp 1
		.amdhsa_ieee_mode 1
		.amdhsa_fp16_overflow 0
		.amdhsa_exception_fp_ieee_invalid_op 0
		.amdhsa_exception_fp_denorm_src 0
		.amdhsa_exception_fp_ieee_div_zero 0
		.amdhsa_exception_fp_ieee_overflow 0
		.amdhsa_exception_fp_ieee_underflow 0
		.amdhsa_exception_fp_ieee_inexact 0
		.amdhsa_exception_int_div_zero 0
	.end_amdhsa_kernel
	.section	.text._Z26selective_scan_vllm_kernelI18SSMFwdKernelTraitsILi128ELi4ELi8ELb0ELb0ELb0EEEv13SSMParamsBase,"axG",@progbits,_Z26selective_scan_vllm_kernelI18SSMFwdKernelTraitsILi128ELi4ELi8ELb0ELb0ELb0EEEv13SSMParamsBase,comdat
.Lfunc_end8:
	.size	_Z26selective_scan_vllm_kernelI18SSMFwdKernelTraitsILi128ELi4ELi8ELb0ELb0ELb0EEEv13SSMParamsBase, .Lfunc_end8-_Z26selective_scan_vllm_kernelI18SSMFwdKernelTraitsILi128ELi4ELi8ELb0ELb0ELb0EEEv13SSMParamsBase
                                        ; -- End function
	.set _Z26selective_scan_vllm_kernelI18SSMFwdKernelTraitsILi128ELi4ELi8ELb0ELb0ELb0EEEv13SSMParamsBase.num_vgpr, 38
	.set _Z26selective_scan_vllm_kernelI18SSMFwdKernelTraitsILi128ELi4ELi8ELb0ELb0ELb0EEEv13SSMParamsBase.num_agpr, 0
	.set _Z26selective_scan_vllm_kernelI18SSMFwdKernelTraitsILi128ELi4ELi8ELb0ELb0ELb0EEEv13SSMParamsBase.numbered_sgpr, 79
	.set _Z26selective_scan_vllm_kernelI18SSMFwdKernelTraitsILi128ELi4ELi8ELb0ELb0ELb0EEEv13SSMParamsBase.num_named_barrier, 0
	.set _Z26selective_scan_vllm_kernelI18SSMFwdKernelTraitsILi128ELi4ELi8ELb0ELb0ELb0EEEv13SSMParamsBase.private_seg_size, 48
	.set _Z26selective_scan_vllm_kernelI18SSMFwdKernelTraitsILi128ELi4ELi8ELb0ELb0ELb0EEEv13SSMParamsBase.uses_vcc, 1
	.set _Z26selective_scan_vllm_kernelI18SSMFwdKernelTraitsILi128ELi4ELi8ELb0ELb0ELb0EEEv13SSMParamsBase.uses_flat_scratch, 0
	.set _Z26selective_scan_vllm_kernelI18SSMFwdKernelTraitsILi128ELi4ELi8ELb0ELb0ELb0EEEv13SSMParamsBase.has_dyn_sized_stack, 0
	.set _Z26selective_scan_vllm_kernelI18SSMFwdKernelTraitsILi128ELi4ELi8ELb0ELb0ELb0EEEv13SSMParamsBase.has_recursion, 0
	.set _Z26selective_scan_vllm_kernelI18SSMFwdKernelTraitsILi128ELi4ELi8ELb0ELb0ELb0EEEv13SSMParamsBase.has_indirect_call, 0
	.section	.AMDGPU.csdata,"",@progbits
; Kernel info:
; codeLenInByte = 3244
; TotalNumSgprs: 83
; NumVgprs: 38
; ScratchSize: 48
; MemoryBound: 0
; FloatMode: 240
; IeeeMode: 1
; LDSByteSize: 0 bytes/workgroup (compile time only)
; SGPRBlocks: 10
; VGPRBlocks: 9
; NumSGPRsForWavesPerEU: 83
; NumVGPRsForWavesPerEU: 38
; Occupancy: 6
; WaveLimiterHint : 0
; COMPUTE_PGM_RSRC2:SCRATCH_EN: 1
; COMPUTE_PGM_RSRC2:USER_SGPR: 6
; COMPUTE_PGM_RSRC2:TRAP_HANDLER: 0
; COMPUTE_PGM_RSRC2:TGID_X_EN: 1
; COMPUTE_PGM_RSRC2:TGID_Y_EN: 1
; COMPUTE_PGM_RSRC2:TGID_Z_EN: 0
; COMPUTE_PGM_RSRC2:TIDIG_COMP_CNT: 0
	.section	.AMDGPU.gpr_maximums,"",@progbits
	.set amdgpu.max_num_vgpr, 0
	.set amdgpu.max_num_agpr, 0
	.set amdgpu.max_num_sgpr, 0
	.section	.AMDGPU.csdata,"",@progbits
	.type	__hip_cuid_15dba0d3fb3f7510,@object ; @__hip_cuid_15dba0d3fb3f7510
	.section	.bss,"aw",@nobits
	.globl	__hip_cuid_15dba0d3fb3f7510
__hip_cuid_15dba0d3fb3f7510:
	.byte	0                               ; 0x0
	.size	__hip_cuid_15dba0d3fb3f7510, 1

	.ident	"AMD clang version 22.0.0git (https://github.com/RadeonOpenCompute/llvm-project roc-7.2.4 26084 f58b06dce1f9c15707c5f808fd002e18c2accf7e)"
	.section	".note.GNU-stack","",@progbits
	.addrsig
	.addrsig_sym __hip_cuid_15dba0d3fb3f7510
	.amdgpu_metadata
---
amdhsa.kernels:
  - .args:
      - .actual_access:  read_only
        .address_space:  global
        .offset:         0
        .size:           8
        .value_kind:     global_buffer
      - .actual_access:  read_only
        .address_space:  global
        .offset:         8
        .size:           8
        .value_kind:     global_buffer
      - .actual_access:  read_only
        .address_space:  global
        .offset:         16
        .size:           8
        .value_kind:     global_buffer
      - .actual_access:  read_only
        .address_space:  global
        .offset:         24
        .size:           8
        .value_kind:     global_buffer
      - .actual_access:  read_only
        .address_space:  global
        .offset:         32
        .size:           8
        .value_kind:     global_buffer
      - .actual_access:  read_only
        .address_space:  global
        .offset:         40
        .size:           8
        .value_kind:     global_buffer
      - .actual_access:  read_only
        .address_space:  global
        .offset:         48
        .size:           8
        .value_kind:     global_buffer
      - .actual_access:  read_only
        .address_space:  global
        .offset:         56
        .size:           8
        .value_kind:     global_buffer
      - .offset:         64
        .size:           1
        .value_kind:     by_value
      - .offset:         68
        .size:           4
        .value_kind:     by_value
      - .offset:         72
        .size:           4
        .value_kind:     by_value
      - .offset:         76
        .size:           4
        .value_kind:     by_value
      - .offset:         80
        .size:           4
        .value_kind:     by_value
      - .address_space:  global
        .offset:         88
        .size:           8
        .value_kind:     global_buffer
      - .actual_access:  write_only
        .address_space:  global
        .offset:         96
        .size:           8
        .value_kind:     global_buffer
      - .offset:         104
        .size:           4
        .value_kind:     hidden_block_count_x
      - .offset:         108
        .size:           4
        .value_kind:     hidden_block_count_y
      - .offset:         112
        .size:           4
        .value_kind:     hidden_block_count_z
      - .offset:         116
        .size:           2
        .value_kind:     hidden_group_size_x
      - .offset:         118
        .size:           2
        .value_kind:     hidden_group_size_y
      - .offset:         120
        .size:           2
        .value_kind:     hidden_group_size_z
      - .offset:         122
        .size:           2
        .value_kind:     hidden_remainder_x
      - .offset:         124
        .size:           2
        .value_kind:     hidden_remainder_y
      - .offset:         126
        .size:           2
        .value_kind:     hidden_remainder_z
      - .offset:         144
        .size:           8
        .value_kind:     hidden_global_offset_x
      - .offset:         152
        .size:           8
        .value_kind:     hidden_global_offset_y
      - .offset:         160
        .size:           8
        .value_kind:     hidden_global_offset_z
      - .offset:         168
        .size:           2
        .value_kind:     hidden_grid_dims
    .group_segment_fixed_size: 0
    .kernarg_segment_align: 8
    .kernarg_segment_size: 360
    .language:       OpenCL C
    .language_version:
      - 2
      - 0
    .max_flat_workgroup_size: 1024
    .name:           _Z19selective_scan_basePKfS0_S0_S0_S0_S0_S0_S0_biiiiPfS1_
    .private_segment_fixed_size: 0
    .sgpr_count:     52
    .sgpr_spill_count: 0
    .symbol:         _Z19selective_scan_basePKfS0_S0_S0_S0_S0_S0_S0_biiiiPfS1_.kd
    .uniform_work_group_size: 1
    .uses_dynamic_stack: false
    .vgpr_count:     26
    .vgpr_spill_count: 0
    .wavefront_size: 64
  - .args:
      - .offset:         0
        .size:           144
        .value_kind:     by_value
    .group_segment_fixed_size: 0
    .kernarg_segment_align: 8
    .kernarg_segment_size: 144
    .language:       OpenCL C
    .language_version:
      - 2
      - 0
    .max_flat_workgroup_size: 128
    .name:           _Z26selective_scan_vllm_kernelI18SSMFwdKernelTraitsILi128ELi4ELi8ELb1ELb1ELb1EEEv13SSMParamsBase
    .private_segment_fixed_size: 48
    .sgpr_count:     75
    .sgpr_spill_count: 0
    .symbol:         _Z26selective_scan_vllm_kernelI18SSMFwdKernelTraitsILi128ELi4ELi8ELb1ELb1ELb1EEEv13SSMParamsBase.kd
    .uniform_work_group_size: 1
    .uses_dynamic_stack: false
    .vgpr_count:     42
    .vgpr_spill_count: 0
    .wavefront_size: 64
  - .args:
      - .offset:         0
        .size:           144
        .value_kind:     by_value
    .group_segment_fixed_size: 0
    .kernarg_segment_align: 8
    .kernarg_segment_size: 144
    .language:       OpenCL C
    .language_version:
      - 2
      - 0
    .max_flat_workgroup_size: 128
    .name:           _Z26selective_scan_vllm_kernelI18SSMFwdKernelTraitsILi128ELi4ELi8ELb1ELb1ELb0EEEv13SSMParamsBase
    .private_segment_fixed_size: 48
    .sgpr_count:     85
    .sgpr_spill_count: 0
    .symbol:         _Z26selective_scan_vllm_kernelI18SSMFwdKernelTraitsILi128ELi4ELi8ELb1ELb1ELb0EEEv13SSMParamsBase.kd
    .uniform_work_group_size: 1
    .uses_dynamic_stack: false
    .vgpr_count:     38
    .vgpr_spill_count: 0
    .wavefront_size: 64
  - .args:
      - .offset:         0
        .size:           144
        .value_kind:     by_value
    .group_segment_fixed_size: 0
    .kernarg_segment_align: 8
    .kernarg_segment_size: 144
    .language:       OpenCL C
    .language_version:
      - 2
      - 0
    .max_flat_workgroup_size: 128
    .name:           _Z26selective_scan_vllm_kernelI18SSMFwdKernelTraitsILi128ELi4ELi8ELb1ELb0ELb1EEEv13SSMParamsBase
    .private_segment_fixed_size: 48
    .sgpr_count:     75
    .sgpr_spill_count: 0
    .symbol:         _Z26selective_scan_vllm_kernelI18SSMFwdKernelTraitsILi128ELi4ELi8ELb1ELb0ELb1EEEv13SSMParamsBase.kd
    .uniform_work_group_size: 1
    .uses_dynamic_stack: false
    .vgpr_count:     42
    .vgpr_spill_count: 0
    .wavefront_size: 64
  - .args:
      - .offset:         0
        .size:           144
        .value_kind:     by_value
    .group_segment_fixed_size: 0
    .kernarg_segment_align: 8
    .kernarg_segment_size: 144
    .language:       OpenCL C
    .language_version:
      - 2
      - 0
    .max_flat_workgroup_size: 128
    .name:           _Z26selective_scan_vllm_kernelI18SSMFwdKernelTraitsILi128ELi4ELi8ELb1ELb0ELb0EEEv13SSMParamsBase
    .private_segment_fixed_size: 48
    .sgpr_count:     85
    .sgpr_spill_count: 0
    .symbol:         _Z26selective_scan_vllm_kernelI18SSMFwdKernelTraitsILi128ELi4ELi8ELb1ELb0ELb0EEEv13SSMParamsBase.kd
    .uniform_work_group_size: 1
    .uses_dynamic_stack: false
    .vgpr_count:     38
    .vgpr_spill_count: 0
    .wavefront_size: 64
  - .args:
      - .offset:         0
        .size:           144
        .value_kind:     by_value
    .group_segment_fixed_size: 0
    .kernarg_segment_align: 8
    .kernarg_segment_size: 144
    .language:       OpenCL C
    .language_version:
      - 2
      - 0
    .max_flat_workgroup_size: 128
    .name:           _Z26selective_scan_vllm_kernelI18SSMFwdKernelTraitsILi128ELi4ELi8ELb0ELb1ELb1EEEv13SSMParamsBase
    .private_segment_fixed_size: 48
    .sgpr_count:     73
    .sgpr_spill_count: 0
    .symbol:         _Z26selective_scan_vllm_kernelI18SSMFwdKernelTraitsILi128ELi4ELi8ELb0ELb1ELb1EEEv13SSMParamsBase.kd
    .uniform_work_group_size: 1
    .uses_dynamic_stack: false
    .vgpr_count:     42
    .vgpr_spill_count: 0
    .wavefront_size: 64
  - .args:
      - .offset:         0
        .size:           144
        .value_kind:     by_value
    .group_segment_fixed_size: 0
    .kernarg_segment_align: 8
    .kernarg_segment_size: 144
    .language:       OpenCL C
    .language_version:
      - 2
      - 0
    .max_flat_workgroup_size: 128
    .name:           _Z26selective_scan_vllm_kernelI18SSMFwdKernelTraitsILi128ELi4ELi8ELb0ELb1ELb0EEEv13SSMParamsBase
    .private_segment_fixed_size: 48
    .sgpr_count:     83
    .sgpr_spill_count: 0
    .symbol:         _Z26selective_scan_vllm_kernelI18SSMFwdKernelTraitsILi128ELi4ELi8ELb0ELb1ELb0EEEv13SSMParamsBase.kd
    .uniform_work_group_size: 1
    .uses_dynamic_stack: false
    .vgpr_count:     38
    .vgpr_spill_count: 0
    .wavefront_size: 64
  - .args:
      - .offset:         0
        .size:           144
        .value_kind:     by_value
    .group_segment_fixed_size: 0
    .kernarg_segment_align: 8
    .kernarg_segment_size: 144
    .language:       OpenCL C
    .language_version:
      - 2
      - 0
    .max_flat_workgroup_size: 128
    .name:           _Z26selective_scan_vllm_kernelI18SSMFwdKernelTraitsILi128ELi4ELi8ELb0ELb0ELb1EEEv13SSMParamsBase
    .private_segment_fixed_size: 48
    .sgpr_count:     73
    .sgpr_spill_count: 0
    .symbol:         _Z26selective_scan_vllm_kernelI18SSMFwdKernelTraitsILi128ELi4ELi8ELb0ELb0ELb1EEEv13SSMParamsBase.kd
    .uniform_work_group_size: 1
    .uses_dynamic_stack: false
    .vgpr_count:     42
    .vgpr_spill_count: 0
    .wavefront_size: 64
  - .args:
      - .offset:         0
        .size:           144
        .value_kind:     by_value
    .group_segment_fixed_size: 0
    .kernarg_segment_align: 8
    .kernarg_segment_size: 144
    .language:       OpenCL C
    .language_version:
      - 2
      - 0
    .max_flat_workgroup_size: 128
    .name:           _Z26selective_scan_vllm_kernelI18SSMFwdKernelTraitsILi128ELi4ELi8ELb0ELb0ELb0EEEv13SSMParamsBase
    .private_segment_fixed_size: 48
    .sgpr_count:     83
    .sgpr_spill_count: 0
    .symbol:         _Z26selective_scan_vllm_kernelI18SSMFwdKernelTraitsILi128ELi4ELi8ELb0ELb0ELb0EEEv13SSMParamsBase.kd
    .uniform_work_group_size: 1
    .uses_dynamic_stack: false
    .vgpr_count:     38
    .vgpr_spill_count: 0
    .wavefront_size: 64
amdhsa.target:   amdgcn-amd-amdhsa--gfx906
amdhsa.version:
  - 1
  - 2
...

	.end_amdgpu_metadata
